;; amdgpu-corpus repo=ROCm/rocFFT kind=compiled arch=gfx950 opt=O3
	.text
	.amdgcn_target "amdgcn-amd-amdhsa--gfx950"
	.amdhsa_code_object_version 6
	.protected	bluestein_single_fwd_len825_dim1_dp_op_CI_CI ; -- Begin function bluestein_single_fwd_len825_dim1_dp_op_CI_CI
	.globl	bluestein_single_fwd_len825_dim1_dp_op_CI_CI
	.p2align	8
	.type	bluestein_single_fwd_len825_dim1_dp_op_CI_CI,@function
bluestein_single_fwd_len825_dim1_dp_op_CI_CI: ; @bluestein_single_fwd_len825_dim1_dp_op_CI_CI
; %bb.0:
	s_load_dwordx4 s[4:7], s[0:1], 0x28
	v_mul_u32_u24_e32 v1, 0x4a8, v0
	v_mov_b32_e32 v5, 0
	v_add_u32_sdwa v6, s2, v1 dst_sel:DWORD dst_unused:UNUSED_PAD src0_sel:DWORD src1_sel:WORD_1
	v_mov_b32_e32 v7, v5
	s_waitcnt lgkmcnt(0)
	v_cmp_gt_u64_e32 vcc, s[4:5], v[6:7]
	s_and_saveexec_b64 s[2:3], vcc
	s_cbranch_execz .LBB0_15
; %bb.1:
	s_load_dwordx4 s[12:15], s[0:1], 0x18
	s_load_dwordx2 s[16:17], s[0:1], 0x0
	v_mov_b32_e32 v4, 55
	v_mul_lo_u16_sdwa v1, v1, v4 dst_sel:DWORD dst_unused:UNUSED_PAD src0_sel:WORD_1 src1_sel:DWORD
	v_sub_u16_e32 v4, v0, v1
	s_waitcnt lgkmcnt(0)
	s_load_dwordx4 s[8:11], s[12:13], 0x0
	v_mov_b32_e32 v2, s6
	v_mov_b32_e32 v3, s7
	s_waitcnt lgkmcnt(0)
	v_mad_u64_u32 v[0:1], s[2:3], s10, v6, 0
	v_mov_b32_e32 v8, v1
	v_mad_u64_u32 v[8:9], s[2:3], s11, v6, v[8:9]
	v_mov_b32_e32 v1, v8
	;; [unrolled: 2-line block ×3, first 2 shown]
	v_mad_u64_u32 v[10:11], s[2:3], s9, v4, v[10:11]
	s_mul_i32 s2, s9, 0x4b
	s_mul_hi_u32 s3, s8, 0x4b
	v_mov_b32_e32 v9, v10
	v_lshl_add_u64 v[0:1], v[0:1], 4, v[2:3]
	s_add_i32 s3, s3, s2
	s_mul_i32 s2, s8, 0x4b
	v_lshl_add_u64 v[2:3], v[8:9], 4, v[0:1]
	v_lshlrev_b32_e32 v0, 4, v4
	s_lshl_b64 s[12:13], s[2:3], 4
	global_load_dwordx4 v[16:19], v0, s[16:17]
	global_load_dwordx4 v[44:47], v[2:3], off
	v_lshl_add_u64 v[8:9], v[2:3], 0, s[12:13]
	v_mov_b32_e32 v1, v5
	global_load_dwordx4 v[48:51], v[8:9], off
	global_load_dwordx4 v[96:99], v0, s[16:17] offset:1200
	v_lshl_add_u64 v[8:9], v[8:9], 0, s[12:13]
	v_lshl_add_u64 v[2:3], s[16:17], 0, v[0:1]
	global_load_dwordx4 v[20:23], v0, s[16:17] offset:2400
	v_lshl_add_u64 v[14:15], v[8:9], 0, s[12:13]
	s_movk_i32 s2, 0x1000
	global_load_dwordx4 v[10:13], v[8:9], off
	global_load_dwordx4 v[56:59], v[14:15], off
	global_load_dwordx4 v[40:43], v0, s[16:17] offset:3600
	v_lshl_add_u64 v[8:9], v[14:15], 0, s[12:13]
	v_add_co_u32_e32 v52, vcc, s2, v2
	global_load_dwordx4 v[60:63], v[8:9], off
	s_nop 0
	v_addc_co_u32_e32 v53, vcc, 0, v3, vcc
	v_lshl_add_u64 v[8:9], v[8:9], 0, s[12:13]
	global_load_dwordx4 v[28:31], v[52:53], off offset:704
	global_load_dwordx4 v[64:67], v[8:9], off
	global_load_dwordx4 v[92:95], v[52:53], off offset:1904
	v_lshl_add_u64 v[8:9], v[8:9], 0, s[12:13]
	s_movk_i32 s2, 0x2000
	global_load_dwordx4 v[68:71], v[8:9], off
	global_load_dwordx4 v[24:27], v[52:53], off offset:3104
	v_add_co_u32_e32 v54, vcc, s2, v2
	v_lshl_add_u64 v[8:9], v[8:9], 0, s[12:13]
	s_nop 0
	v_addc_co_u32_e32 v55, vcc, 0, v3, vcc
	global_load_dwordx4 v[72:75], v[8:9], off
	global_load_dwordx4 v[100:103], v[54:55], off offset:208
	v_lshl_add_u64 v[8:9], v[8:9], 0, s[12:13]
	global_load_dwordx4 v[76:79], v[8:9], off
	global_load_dwordx4 v[32:35], v[54:55], off offset:1408
	v_lshl_add_u64 v[8:9], v[8:9], 0, s[12:13]
	;; [unrolled: 3-line block ×3, first 2 shown]
	global_load_dwordx4 v[104:107], v[54:55], off offset:3808
	global_load_dwordx4 v[84:87], v[8:9], off
	s_load_dwordx2 s[10:11], s[0:1], 0x38
	s_load_dwordx4 s[4:7], s[14:15], 0x0
	v_accvgpr_write_b32 a0, v2
	v_accvgpr_write_b32 a1, v3
	v_cmp_gt_u16_e32 vcc, 20, v4
	s_waitcnt vmcnt(21)
	v_accvgpr_write_b32 a4, v16
	s_waitcnt vmcnt(20)
	v_mul_f64 v[88:89], v[46:47], v[18:19]
	v_mul_f64 v[14:15], v[44:45], v[18:19]
	v_fmac_f64_e32 v[88:89], v[44:45], v[16:17]
	v_fma_f64 v[90:91], v[46:47], v[16:17], -v[14:15]
	s_waitcnt vmcnt(18)
	v_mul_f64 v[44:45], v[50:51], v[98:99]
	v_mul_f64 v[14:15], v[48:49], v[98:99]
	v_fmac_f64_e32 v[44:45], v[48:49], v[96:97]
	v_fma_f64 v[46:47], v[50:51], v[96:97], -v[14:15]
	;; [unrolled: 5-line block ×4, first 2 shown]
	ds_write_b128 v0, v[10:13] offset:3600
	v_accvgpr_write_b32 a36, v96
	s_waitcnt vmcnt(10)
	v_mul_f64 v[10:11], v[66:67], v[94:95]
	v_mul_f64 v[12:13], v[64:65], v[94:95]
	v_fmac_f64_e32 v[10:11], v[64:65], v[92:93]
	v_fma_f64 v[12:13], v[66:67], v[92:93], -v[12:13]
	ds_write_b128 v0, v[10:13] offset:6000
	s_waitcnt vmcnt(8)
	v_mul_f64 v[10:11], v[70:71], v[26:27]
	v_mul_f64 v[12:13], v[68:69], v[26:27]
	v_fmac_f64_e32 v[10:11], v[68:69], v[24:25]
	v_fma_f64 v[12:13], v[70:71], v[24:25], -v[12:13]
	ds_write_b128 v0, v[10:13] offset:7200
	;; [unrolled: 6-line block ×5, first 2 shown]
	v_accvgpr_write_b32 a8, v20
	v_accvgpr_write_b32 a28, v40
	v_mul_f64 v[44:45], v[62:63], v[30:31]
	v_mul_f64 v[14:15], v[60:61], v[30:31]
	v_accvgpr_write_b32 a16, v28
	v_accvgpr_write_b32 a32, v92
	;; [unrolled: 1-line block ×6, first 2 shown]
	ds_write_b128 v0, v[10:13] offset:10800
	s_waitcnt vmcnt(0)
	v_mul_f64 v[10:11], v[86:87], v[106:107]
	v_mul_f64 v[12:13], v[84:85], v[106:107]
	v_accvgpr_write_b32 a44, v104
	v_accvgpr_write_b32 a5, v17
	;; [unrolled: 1-line block ×13, first 2 shown]
	v_fmac_f64_e32 v[44:45], v[60:61], v[28:29]
	v_accvgpr_write_b32 a17, v29
	v_accvgpr_write_b32 a18, v30
	;; [unrolled: 1-line block ×3, first 2 shown]
	v_fma_f64 v[46:47], v[62:63], v[28:29], -v[14:15]
	v_accvgpr_write_b32 a33, v93
	v_accvgpr_write_b32 a34, v94
	;; [unrolled: 1-line block ×15, first 2 shown]
	v_fmac_f64_e32 v[10:11], v[84:85], v[104:105]
	v_accvgpr_write_b32 a45, v105
	v_accvgpr_write_b32 a46, v106
	;; [unrolled: 1-line block ×3, first 2 shown]
	v_fma_f64 v[12:13], v[86:87], v[104:105], -v[12:13]
	ds_write_b128 v0, v[88:91]
	ds_write_b128 v0, v[48:51] offset:2400
	ds_write_b128 v0, v[44:47] offset:4800
	;; [unrolled: 1-line block ×3, first 2 shown]
	s_and_saveexec_b64 s[14:15], vcc
	s_cbranch_execz .LBB0_3
; %bb.2:
	v_mov_b32_e32 v1, 0xffffd490
	v_mad_u64_u32 v[8:9], s[2:3], s8, v1, v[8:9]
	s_mul_i32 s2, s9, 0xffffd490
	s_sub_i32 s2, s2, s8
	v_accvgpr_read_b32 v3, a1
	v_add_u32_e32 v9, s2, v9
	v_accvgpr_read_b32 v2, a0
	global_load_dwordx4 v[44:47], v[8:9], off
	global_load_dwordx4 v[48:51], v[2:3], off offset:880
	v_lshl_add_u64 v[16:17], v[8:9], 0, s[12:13]
	global_load_dwordx4 v[8:11], v[16:17], off
	global_load_dwordx4 v[12:15], v[2:3], off offset:2080
	v_lshl_add_u64 v[16:17], v[16:17], 0, s[12:13]
	global_load_dwordx4 v[56:59], v[16:17], off
	global_load_dwordx4 v[60:63], v[2:3], off offset:3280
	global_load_dwordx4 v[64:67], v[52:53], off offset:384
	v_lshl_add_u64 v[16:17], v[16:17], 0, s[12:13]
	global_load_dwordx4 v[68:71], v[16:17], off
	v_lshl_add_u64 v[16:17], v[16:17], 0, s[12:13]
	global_load_dwordx4 v[72:75], v[16:17], off
	global_load_dwordx4 v[76:79], v[52:53], off offset:1584
	global_load_dwordx4 v[80:83], v[52:53], off offset:2784
	v_lshl_add_u64 v[16:17], v[16:17], 0, s[12:13]
	global_load_dwordx4 v[84:87], v[16:17], off
	;; [unrolled: 6-line block ×3, first 2 shown]
	global_load_dwordx4 v[104:107], v[54:55], off offset:2288
	global_load_dwordx4 v[108:111], v[54:55], off offset:3488
	v_lshl_add_u64 v[16:17], v[16:17], 0, s[12:13]
	s_movk_i32 s2, 0x3000
	global_load_dwordx4 v[52:55], v[16:17], off
	v_lshl_add_u64 v[16:17], v[16:17], 0, s[12:13]
	v_add_co_u32_e64 v18, s[2:3], s2, v2
	global_load_dwordx4 v[112:115], v[16:17], off
	s_nop 0
	v_addc_co_u32_e64 v19, s[2:3], 0, v3, s[2:3]
	v_lshl_add_u64 v[16:17], v[16:17], 0, s[12:13]
	global_load_dwordx4 v[116:119], v[18:19], off offset:592
	global_load_dwordx4 v[120:123], v[16:17], off
	s_waitcnt vmcnt(20)
	v_mul_f64 v[124:125], v[46:47], v[50:51]
	v_mul_f64 v[16:17], v[44:45], v[50:51]
	v_fmac_f64_e32 v[124:125], v[44:45], v[48:49]
	s_waitcnt vmcnt(18)
	v_mul_f64 v[44:45], v[10:11], v[14:15]
	v_mul_f64 v[14:15], v[8:9], v[14:15]
	v_fma_f64 v[126:127], v[46:47], v[48:49], -v[16:17]
	v_fmac_f64_e32 v[44:45], v[8:9], v[12:13]
	v_fma_f64 v[46:47], v[10:11], v[12:13], -v[14:15]
	s_waitcnt vmcnt(16)
	v_mul_f64 v[8:9], v[58:59], v[62:63]
	v_mul_f64 v[10:11], v[56:57], v[62:63]
	v_fmac_f64_e32 v[8:9], v[56:57], v[60:61]
	v_fma_f64 v[10:11], v[58:59], v[60:61], -v[10:11]
	s_waitcnt vmcnt(14)
	v_mul_f64 v[12:13], v[70:71], v[66:67]
	v_mul_f64 v[14:15], v[68:69], v[66:67]
	ds_write_b128 v0, v[8:11] offset:3280
	s_waitcnt vmcnt(12)
	v_mul_f64 v[8:9], v[74:75], v[78:79]
	v_mul_f64 v[10:11], v[72:73], v[78:79]
	v_fmac_f64_e32 v[12:13], v[68:69], v[64:65]
	v_fma_f64 v[14:15], v[70:71], v[64:65], -v[14:15]
	v_fmac_f64_e32 v[8:9], v[72:73], v[76:77]
	v_fma_f64 v[10:11], v[74:75], v[76:77], -v[10:11]
	ds_write_b128 v0, v[12:15] offset:4480
	s_waitcnt vmcnt(10)
	v_mul_f64 v[12:13], v[86:87], v[82:83]
	v_mul_f64 v[14:15], v[84:85], v[82:83]
	ds_write_b128 v0, v[8:11] offset:5680
	s_waitcnt vmcnt(8)
	v_mul_f64 v[8:9], v[90:91], v[94:95]
	v_mul_f64 v[10:11], v[88:89], v[94:95]
	v_fmac_f64_e32 v[12:13], v[84:85], v[80:81]
	v_fma_f64 v[14:15], v[86:87], v[80:81], -v[14:15]
	v_fmac_f64_e32 v[8:9], v[88:89], v[92:93]
	v_fma_f64 v[10:11], v[90:91], v[92:93], -v[10:11]
	ds_write_b128 v0, v[12:15] offset:6880
	;; [unrolled: 12-line block ×4, first 2 shown]
	ds_write_b128 v0, v[44:47] offset:2080
	ds_write_b128 v0, v[12:15] offset:11680
	;; [unrolled: 1-line block ×3, first 2 shown]
.LBB0_3:
	s_or_b64 exec, exec, s[14:15]
	s_waitcnt lgkmcnt(0)
	; wave barrier
	s_waitcnt lgkmcnt(0)
	ds_read_b128 v[120:123], v0
	ds_read_b128 v[128:131], v0 offset:1200
	ds_read_b128 v[68:71], v0 offset:2400
	;; [unrolled: 1-line block ×10, first 2 shown]
	s_load_dwordx2 s[2:3], s[0:1], 0x8
                                        ; implicit-def: $vgpr72_vgpr73
                                        ; implicit-def: $vgpr76_vgpr77
                                        ; implicit-def: $vgpr80_vgpr81
                                        ; implicit-def: $vgpr84_vgpr85
                                        ; implicit-def: $vgpr88_vgpr89
                                        ; implicit-def: $vgpr92_vgpr93
                                        ; implicit-def: $vgpr96_vgpr97
                                        ; implicit-def: $vgpr100_vgpr101
                                        ; implicit-def: $vgpr104_vgpr105
                                        ; implicit-def: $vgpr108_vgpr109
                                        ; implicit-def: $vgpr112_vgpr113
	s_and_saveexec_b64 s[0:1], vcc
	s_cbranch_execz .LBB0_5
; %bb.4:
	ds_read_b128 v[72:75], v0 offset:880
	ds_read_b128 v[76:79], v0 offset:2080
	;; [unrolled: 1-line block ×11, first 2 shown]
.LBB0_5:
	s_or_b64 exec, exec, s[0:1]
	s_waitcnt lgkmcnt(0)
	v_add_f64 v[8:9], v[120:121], v[128:129]
	v_add_f64 v[8:9], v[8:9], v[68:69]
	;; [unrolled: 1-line block ×14, first 2 shown]
	s_mov_b32 s24, 0xf8bb580b
	s_mov_b32 s36, 0x8eee2c13
	;; [unrolled: 1-line block ×5, first 2 shown]
	v_add_f64 v[10:11], v[10:11], v[58:59]
	v_add_f64 v[8:9], v[8:9], v[124:125]
	v_add_f64 v[14:15], v[130:131], -v[134:135]
	s_mov_b32 s25, 0xbfe14ced
	s_mov_b32 s37, 0xbfed1bb4
	s_mov_b32 s21, 0xbfefac9e
	s_mov_b32 s23, 0xbfe82f19
	s_mov_b32 s27, 0xbfd207e7
	s_mov_b32 s18, 0x9bcd5057
	v_add_f64 v[10:11], v[10:11], v[66:67]
	v_add_f64 v[116:117], v[8:9], v[132:133]
	;; [unrolled: 1-line block ×3, first 2 shown]
	v_add_f64 v[12:13], v[128:129], -v[132:133]
	v_mul_f64 v[16:17], v[14:15], s[24:25]
	s_mov_b32 s0, 0x8764f0ba
	v_mul_f64 v[24:25], v[14:15], s[36:37]
	s_mov_b32 s8, 0xd9c712b6
	;; [unrolled: 2-line block ×5, first 2 shown]
	v_add_f64 v[10:11], v[10:11], v[126:127]
	s_mov_b32 s1, 0x3feaeb8c
	s_mov_b32 s9, 0x3fda9628
	;; [unrolled: 1-line block ×4, first 2 shown]
	v_fma_f64 v[144:145], v[8:9], s[18:19], -v[14:15]
	v_fmac_f64_e32 v[14:15], s[18:19], v[8:9]
	v_add_f64 v[118:119], v[10:11], v[134:135]
	v_add_f64 v[10:11], v[130:131], v[134:135]
	v_fma_f64 v[18:19], v[8:9], s[0:1], -v[16:17]
	v_mul_f64 v[20:21], v[12:13], s[24:25]
	v_fmac_f64_e32 v[16:17], s[0:1], v[8:9]
	v_fma_f64 v[26:27], v[8:9], s[8:9], -v[24:25]
	v_mul_f64 v[28:29], v[12:13], s[36:37]
	v_fmac_f64_e32 v[24:25], s[8:9], v[8:9]
	;; [unrolled: 3-line block ×4, first 2 shown]
	v_mul_f64 v[12:13], v[12:13], s[26:27]
	v_add_f64 v[8:9], v[120:121], v[14:15]
	v_add_f64 v[14:15], v[70:71], v[126:127]
	v_add_f64 v[70:71], v[70:71], -v[126:127]
	v_add_f64 v[18:19], v[120:121], v[18:19]
	v_fma_f64 v[22:23], s[0:1], v[10:11], v[20:21]
	v_add_f64 v[16:17], v[120:121], v[16:17]
	v_fma_f64 v[20:21], v[10:11], s[0:1], -v[20:21]
	v_add_f64 v[26:27], v[120:121], v[26:27]
	v_fma_f64 v[30:31], s[8:9], v[10:11], v[28:29]
	v_add_f64 v[24:25], v[120:121], v[24:25]
	v_fma_f64 v[28:29], v[10:11], s[8:9], -v[28:29]
	;; [unrolled: 4-line block ×4, first 2 shown]
	v_add_f64 v[144:145], v[120:121], v[144:145]
	v_fma_f64 v[146:147], s[18:19], v[10:11], v[12:13]
	v_fma_f64 v[10:11], v[10:11], s[18:19], -v[12:13]
	v_add_f64 v[12:13], v[68:69], v[124:125]
	v_mul_f64 v[120:121], v[70:71], s[36:37]
	v_add_f64 v[22:23], v[122:123], v[22:23]
	v_add_f64 v[20:21], v[122:123], v[20:21]
	;; [unrolled: 1-line block ×10, first 2 shown]
	v_add_f64 v[68:69], v[68:69], -v[124:125]
	v_fma_f64 v[122:123], v[12:13], s[8:9], -v[120:121]
	v_add_f64 v[18:19], v[122:123], v[18:19]
	v_mul_f64 v[122:123], v[68:69], s[36:37]
	v_fmac_f64_e32 v[120:121], s[8:9], v[12:13]
	v_add_f64 v[16:17], v[120:121], v[16:17]
	v_fma_f64 v[120:121], v[14:15], s[8:9], -v[122:123]
	v_add_f64 v[20:21], v[120:121], v[20:21]
	v_mul_f64 v[120:121], v[70:71], s[22:23]
	v_fma_f64 v[124:125], s[8:9], v[14:15], v[122:123]
	v_fma_f64 v[122:123], v[12:13], s[14:15], -v[120:121]
	v_add_f64 v[26:27], v[122:123], v[26:27]
	v_mul_f64 v[122:123], v[68:69], s[22:23]
	v_fmac_f64_e32 v[120:121], s[14:15], v[12:13]
	v_add_f64 v[24:25], v[120:121], v[24:25]
	v_fma_f64 v[120:121], v[14:15], s[14:15], -v[122:123]
	s_mov_b32 s39, 0x3fd207e7
	s_mov_b32 s38, s26
	v_add_f64 v[22:23], v[124:125], v[22:23]
	v_fma_f64 v[124:125], s[14:15], v[14:15], v[122:123]
	v_add_f64 v[28:29], v[120:121], v[28:29]
	v_mul_f64 v[120:121], v[70:71], s[38:39]
	v_add_f64 v[30:31], v[124:125], v[30:31]
	v_fma_f64 v[122:123], v[12:13], s[18:19], -v[120:121]
	v_mul_f64 v[124:125], v[68:69], s[38:39]
	v_fmac_f64_e32 v[120:121], s[18:19], v[12:13]
	s_mov_b32 s35, 0x3fefac9e
	s_mov_b32 s34, s20
	v_fma_f64 v[126:127], s[18:19], v[14:15], v[124:125]
	v_add_f64 v[120:121], v[120:121], v[128:129]
	v_fma_f64 v[124:125], v[14:15], s[18:19], -v[124:125]
	v_mul_f64 v[128:129], v[70:71], s[34:35]
	s_mov_b32 s31, 0x3fe14ced
	s_mov_b32 s30, s24
	v_add_f64 v[122:123], v[122:123], v[130:131]
	v_add_f64 v[124:125], v[124:125], v[132:133]
	v_fma_f64 v[130:131], v[12:13], s[12:13], -v[128:129]
	v_mul_f64 v[132:133], v[68:69], s[34:35]
	v_fmac_f64_e32 v[128:129], s[12:13], v[12:13]
	v_mul_f64 v[70:71], v[70:71], s[30:31]
	v_mul_f64 v[68:69], v[68:69], s[30:31]
	v_add_f64 v[126:127], v[126:127], v[134:135]
	v_add_f64 v[130:131], v[130:131], v[138:139]
	v_fma_f64 v[134:135], s[12:13], v[14:15], v[132:133]
	v_add_f64 v[128:129], v[128:129], v[136:137]
	v_fma_f64 v[132:133], v[14:15], s[12:13], -v[132:133]
	v_fma_f64 v[136:137], v[12:13], s[0:1], -v[70:71]
	v_fma_f64 v[138:139], s[0:1], v[14:15], v[68:69]
	v_fmac_f64_e32 v[70:71], s[0:1], v[12:13]
	v_fma_f64 v[12:13], v[14:15], s[0:1], -v[68:69]
	v_add_f64 v[14:15], v[62:63], v[66:67]
	v_add_f64 v[62:63], v[62:63], -v[66:67]
	v_add_f64 v[10:11], v[12:13], v[10:11]
	v_add_f64 v[12:13], v[60:61], v[64:65]
	v_add_f64 v[60:61], v[60:61], -v[64:65]
	v_mul_f64 v[64:65], v[62:63], s[20:21]
	v_fma_f64 v[66:67], v[12:13], s[12:13], -v[64:65]
	v_add_f64 v[18:19], v[66:67], v[18:19]
	v_mul_f64 v[66:67], v[60:61], s[20:21]
	v_fmac_f64_e32 v[64:65], s[12:13], v[12:13]
	v_add_f64 v[16:17], v[64:65], v[16:17]
	v_fma_f64 v[64:65], v[14:15], s[12:13], -v[66:67]
	v_add_f64 v[20:21], v[64:65], v[20:21]
	v_mul_f64 v[64:65], v[62:63], s[38:39]
	v_fma_f64 v[68:69], s[12:13], v[14:15], v[66:67]
	v_fma_f64 v[66:67], v[12:13], s[18:19], -v[64:65]
	v_add_f64 v[26:27], v[66:67], v[26:27]
	v_mul_f64 v[66:67], v[60:61], s[38:39]
	v_fmac_f64_e32 v[64:65], s[18:19], v[12:13]
	v_add_f64 v[24:25], v[64:65], v[24:25]
	v_fma_f64 v[64:65], v[14:15], s[18:19], -v[66:67]
	s_mov_b32 s29, 0x3fed1bb4
	s_mov_b32 s28, s36
	v_add_f64 v[22:23], v[68:69], v[22:23]
	v_fma_f64 v[68:69], s[18:19], v[14:15], v[66:67]
	v_add_f64 v[28:29], v[64:65], v[28:29]
	v_mul_f64 v[64:65], v[62:63], s[28:29]
	v_add_f64 v[30:31], v[68:69], v[30:31]
	v_fma_f64 v[66:67], v[12:13], s[8:9], -v[64:65]
	v_mul_f64 v[68:69], v[60:61], s[28:29]
	v_fmac_f64_e32 v[64:65], s[8:9], v[12:13]
	v_add_f64 v[8:9], v[70:71], v[8:9]
	v_fma_f64 v[70:71], s[8:9], v[14:15], v[68:69]
	v_add_f64 v[64:65], v[64:65], v[120:121]
	v_fma_f64 v[68:69], v[14:15], s[8:9], -v[68:69]
	v_mul_f64 v[120:121], v[62:63], s[24:25]
	v_add_f64 v[66:67], v[66:67], v[122:123]
	v_add_f64 v[68:69], v[68:69], v[124:125]
	v_fma_f64 v[122:123], v[12:13], s[0:1], -v[120:121]
	v_mul_f64 v[124:125], v[60:61], s[24:25]
	v_fmac_f64_e32 v[120:121], s[0:1], v[12:13]
	v_mul_f64 v[62:63], v[62:63], s[22:23]
	v_mul_f64 v[60:61], v[60:61], s[22:23]
	v_add_f64 v[70:71], v[70:71], v[126:127]
	v_add_f64 v[122:123], v[122:123], v[130:131]
	v_fma_f64 v[126:127], s[0:1], v[14:15], v[124:125]
	v_add_f64 v[120:121], v[120:121], v[128:129]
	v_fma_f64 v[124:125], v[14:15], s[0:1], -v[124:125]
	v_fma_f64 v[128:129], v[12:13], s[14:15], -v[62:63]
	v_fma_f64 v[130:131], s[14:15], v[14:15], v[60:61]
	v_fmac_f64_e32 v[62:63], s[14:15], v[12:13]
	v_fma_f64 v[12:13], v[14:15], s[14:15], -v[60:61]
	v_add_f64 v[14:15], v[54:55], v[58:59]
	v_add_f64 v[54:55], v[54:55], -v[58:59]
	v_add_f64 v[10:11], v[12:13], v[10:11]
	v_add_f64 v[12:13], v[52:53], v[56:57]
	v_add_f64 v[52:53], v[52:53], -v[56:57]
	v_mul_f64 v[56:57], v[54:55], s[22:23]
	v_fma_f64 v[58:59], v[12:13], s[14:15], -v[56:57]
	v_add_f64 v[18:19], v[58:59], v[18:19]
	v_mul_f64 v[58:59], v[52:53], s[22:23]
	v_fmac_f64_e32 v[56:57], s[14:15], v[12:13]
	v_add_f64 v[16:17], v[56:57], v[16:17]
	v_fma_f64 v[56:57], v[14:15], s[14:15], -v[58:59]
	v_add_f64 v[20:21], v[56:57], v[20:21]
	v_mul_f64 v[56:57], v[54:55], s[34:35]
	v_fma_f64 v[60:61], s[14:15], v[14:15], v[58:59]
	v_fma_f64 v[58:59], v[12:13], s[12:13], -v[56:57]
	v_add_f64 v[26:27], v[58:59], v[26:27]
	v_mul_f64 v[58:59], v[52:53], s[34:35]
	v_fmac_f64_e32 v[56:57], s[12:13], v[12:13]
	v_add_f64 v[24:25], v[56:57], v[24:25]
	v_fma_f64 v[56:57], v[14:15], s[12:13], -v[58:59]
	v_add_f64 v[28:29], v[56:57], v[28:29]
	v_mul_f64 v[56:57], v[54:55], s[24:25]
	v_add_f64 v[22:23], v[60:61], v[22:23]
	v_fma_f64 v[60:61], s[12:13], v[14:15], v[58:59]
	v_fma_f64 v[58:59], v[12:13], s[0:1], -v[56:57]
	v_fmac_f64_e32 v[56:57], s[0:1], v[12:13]
	v_add_f64 v[30:31], v[60:61], v[30:31]
	v_mul_f64 v[60:61], v[52:53], s[24:25]
	v_add_f64 v[56:57], v[56:57], v[64:65]
	v_mul_f64 v[64:65], v[54:55], s[26:27]
	v_add_f64 v[136:137], v[136:137], v[144:145]
	v_add_f64 v[8:9], v[62:63], v[8:9]
	;; [unrolled: 1-line block ×3, first 2 shown]
	v_fma_f64 v[62:63], s[0:1], v[14:15], v[60:61]
	v_fma_f64 v[60:61], v[14:15], s[0:1], -v[60:61]
	v_fma_f64 v[66:67], v[12:13], s[18:19], -v[64:65]
	v_fmac_f64_e32 v[64:65], s[18:19], v[12:13]
	v_mul_f64 v[54:55], v[54:55], s[28:29]
	v_add_f64 v[128:129], v[128:129], v[136:137]
	v_add_f64 v[60:61], v[60:61], v[68:69]
	v_mul_f64 v[68:69], v[52:53], s[26:27]
	v_add_f64 v[64:65], v[64:65], v[120:121]
	v_fma_f64 v[120:121], v[12:13], s[8:9], -v[54:55]
	v_mul_f64 v[52:53], v[52:53], s[28:29]
	v_add_f64 v[62:63], v[62:63], v[70:71]
	v_fma_f64 v[70:71], s[18:19], v[14:15], v[68:69]
	v_fma_f64 v[68:69], v[14:15], s[18:19], -v[68:69]
	v_add_f64 v[152:153], v[120:121], v[128:129]
	v_fma_f64 v[120:121], s[8:9], v[14:15], v[52:53]
	v_fmac_f64_e32 v[54:55], s[8:9], v[12:13]
	v_fma_f64 v[12:13], v[14:15], s[8:9], -v[52:53]
	v_add_f64 v[14:15], v[46:47], v[50:51]
	v_add_f64 v[46:47], v[46:47], -v[50:51]
	v_add_f64 v[10:11], v[12:13], v[10:11]
	v_add_f64 v[12:13], v[44:45], v[48:49]
	v_add_f64 v[44:45], v[44:45], -v[48:49]
	v_mul_f64 v[48:49], v[46:47], s[26:27]
	v_add_f64 v[138:139], v[138:139], v[146:147]
	v_fma_f64 v[50:51], v[12:13], s[18:19], -v[48:49]
	v_add_f64 v[130:131], v[130:131], v[138:139]
	v_add_f64 v[128:129], v[50:51], v[18:19]
	v_mul_f64 v[18:19], v[44:45], s[26:27]
	v_fmac_f64_e32 v[48:49], s[18:19], v[12:13]
	v_add_f64 v[154:155], v[120:121], v[130:131]
	v_add_f64 v[120:121], v[48:49], v[16:17]
	v_fma_f64 v[16:17], v[14:15], s[18:19], -v[18:19]
	v_add_f64 v[66:67], v[66:67], v[122:123]
	v_add_f64 v[122:123], v[16:17], v[20:21]
	v_mul_f64 v[16:17], v[46:47], s[30:31]
	v_add_f64 v[132:133], v[132:133], v[140:141]
	v_fma_f64 v[50:51], s[18:19], v[14:15], v[18:19]
	v_fma_f64 v[18:19], v[12:13], s[0:1], -v[16:17]
	v_add_f64 v[134:135], v[134:135], v[142:143]
	v_add_f64 v[124:125], v[124:125], v[132:133]
	;; [unrolled: 1-line block ×3, first 2 shown]
	v_mul_f64 v[18:19], v[44:45], s[30:31]
	v_fmac_f64_e32 v[16:17], s[0:1], v[12:13]
	v_add_f64 v[126:127], v[126:127], v[134:135]
	v_add_f64 v[68:69], v[68:69], v[124:125]
	;; [unrolled: 1-line block ×3, first 2 shown]
	v_fma_f64 v[16:17], v[14:15], s[0:1], -v[18:19]
	v_add_f64 v[70:71], v[70:71], v[126:127]
	v_add_f64 v[126:127], v[16:17], v[28:29]
	v_mul_f64 v[16:17], v[46:47], s[22:23]
	v_fma_f64 v[20:21], s[0:1], v[14:15], v[18:19]
	v_fma_f64 v[18:19], v[12:13], s[14:15], -v[16:17]
	v_add_f64 v[140:141], v[18:19], v[58:59]
	v_mul_f64 v[18:19], v[44:45], s[22:23]
	v_fmac_f64_e32 v[16:17], s[14:15], v[12:13]
	v_add_f64 v[132:133], v[16:17], v[56:57]
	v_fma_f64 v[16:17], v[14:15], s[14:15], -v[18:19]
	v_add_f64 v[134:135], v[16:17], v[60:61]
	v_mul_f64 v[16:17], v[46:47], s[28:29]
	v_add_f64 v[138:139], v[20:21], v[30:31]
	v_fma_f64 v[20:21], s[14:15], v[14:15], v[18:19]
	v_fma_f64 v[18:19], v[12:13], s[8:9], -v[16:17]
	v_add_f64 v[148:149], v[18:19], v[66:67]
	v_mul_f64 v[18:19], v[44:45], s[28:29]
	v_fmac_f64_e32 v[16:17], s[8:9], v[12:13]
	v_add_f64 v[144:145], v[16:17], v[64:65]
	v_fma_f64 v[16:17], v[14:15], s[8:9], -v[18:19]
	v_add_f64 v[146:147], v[16:17], v[68:69]
	v_mul_f64 v[16:17], v[46:47], s[20:21]
	v_add_f64 v[142:143], v[20:21], v[62:63]
	v_fma_f64 v[20:21], s[8:9], v[14:15], v[18:19]
	v_fma_f64 v[18:19], v[12:13], s[12:13], -v[16:17]
	v_add_f64 v[8:9], v[54:55], v[8:9]
	v_add_f64 v[152:153], v[18:19], v[152:153]
	v_mul_f64 v[18:19], v[44:45], s[20:21]
	v_fmac_f64_e32 v[16:17], s[12:13], v[12:13]
	v_add_f64 v[156:157], v[16:17], v[8:9]
	v_fma_f64 v[8:9], v[14:15], s[12:13], -v[18:19]
	v_add_f64 v[158:159], v[8:9], v[10:11]
	v_add_f64 v[10:11], v[78:79], -v[114:115]
	v_add_f64 v[130:131], v[50:51], v[22:23]
	v_add_f64 v[176:177], v[76:77], v[112:113]
	v_add_f64 v[8:9], v[76:77], -v[112:113]
	v_mul_f64 v[160:161], v[10:11], s[24:25]
	v_add_f64 v[50:51], v[82:83], -v[110:111]
	v_add_f64 v[178:179], v[78:79], v[114:115]
	v_mul_f64 v[162:163], v[8:9], s[24:25]
	v_fma_f64 v[12:13], s[0:1], v[176:177], v[160:161]
	v_add_f64 v[190:191], v[80:81], v[108:109]
	v_add_f64 v[48:49], v[80:81], -v[108:109]
	v_mul_f64 v[172:173], v[50:51], s[36:37]
	v_add_f64 v[150:151], v[20:21], v[70:71]
	v_fma_f64 v[20:21], s[12:13], v[14:15], v[18:19]
	v_add_f64 v[12:13], v[72:73], v[12:13]
	v_fma_f64 v[14:15], v[178:179], s[0:1], -v[162:163]
	v_mul_f64 v[164:165], v[10:11], s[36:37]
	v_add_f64 v[192:193], v[82:83], v[110:111]
	v_mul_f64 v[174:175], v[48:49], s[36:37]
	v_fma_f64 v[52:53], s[8:9], v[190:191], v[172:173]
	v_add_f64 v[14:15], v[74:75], v[14:15]
	v_mul_f64 v[166:167], v[8:9], s[36:37]
	v_fma_f64 v[16:17], s[8:9], v[176:177], v[164:165]
	v_add_f64 v[12:13], v[52:53], v[12:13]
	v_fma_f64 v[52:53], v[192:193], s[8:9], -v[174:175]
	v_mul_f64 v[180:181], v[50:51], s[22:23]
	v_add_f64 v[16:17], v[72:73], v[16:17]
	v_fma_f64 v[18:19], v[178:179], s[8:9], -v[166:167]
	v_mul_f64 v[168:169], v[10:11], s[20:21]
	v_add_f64 v[14:15], v[52:53], v[14:15]
	v_mul_f64 v[182:183], v[48:49], s[22:23]
	v_fma_f64 v[52:53], s[14:15], v[190:191], v[180:181]
	v_add_f64 v[154:155], v[20:21], v[154:155]
	v_add_f64 v[18:19], v[74:75], v[18:19]
	v_mul_f64 v[170:171], v[8:9], s[20:21]
	v_fma_f64 v[20:21], s[12:13], v[176:177], v[168:169]
	v_add_f64 v[16:17], v[52:53], v[16:17]
	v_fma_f64 v[52:53], v[192:193], s[14:15], -v[182:183]
	v_mul_f64 v[184:185], v[50:51], s[38:39]
	v_add_f64 v[20:21], v[72:73], v[20:21]
	v_fma_f64 v[22:23], v[178:179], s[12:13], -v[170:171]
	v_add_f64 v[18:19], v[52:53], v[18:19]
	v_mul_f64 v[186:187], v[48:49], s[38:39]
	v_fma_f64 v[52:53], s[18:19], v[190:191], v[184:185]
	v_add_f64 v[22:23], v[74:75], v[22:23]
	v_mul_f64 v[24:25], v[10:11], s[22:23]
	v_add_f64 v[20:21], v[52:53], v[20:21]
	v_fma_f64 v[52:53], v[192:193], s[18:19], -v[186:187]
	v_fma_f64 v[26:27], v[176:177], s[14:15], -v[24:25]
	v_add_f64 v[22:23], v[52:53], v[22:23]
	v_mul_f64 v[52:53], v[50:51], s[34:35]
	v_add_f64 v[26:27], v[72:73], v[26:27]
	v_mul_f64 v[28:29], v[8:9], s[22:23]
	v_fmac_f64_e32 v[24:25], s[14:15], v[176:177]
	v_fma_f64 v[54:55], v[190:191], s[12:13], -v[52:53]
	v_fma_f64 v[30:31], s[14:15], v[178:179], v[28:29]
	v_add_f64 v[24:25], v[72:73], v[24:25]
	v_fma_f64 v[28:29], v[178:179], s[14:15], -v[28:29]
	v_mul_f64 v[10:11], v[10:11], s[26:27]
	v_add_f64 v[26:27], v[54:55], v[26:27]
	v_mul_f64 v[54:55], v[48:49], s[34:35]
	v_fmac_f64_e32 v[52:53], s[12:13], v[190:191]
	v_add_f64 v[28:29], v[74:75], v[28:29]
	v_fma_f64 v[44:45], v[176:177], s[18:19], -v[10:11]
	v_mul_f64 v[8:9], v[8:9], s[26:27]
	v_fmac_f64_e32 v[10:11], s[18:19], v[176:177]
	v_add_f64 v[24:25], v[52:53], v[24:25]
	v_fma_f64 v[52:53], v[192:193], s[12:13], -v[54:55]
	v_mul_f64 v[50:51], v[50:51], s[30:31]
	v_add_f64 v[44:45], v[72:73], v[44:45]
	v_fma_f64 v[46:47], s[18:19], v[178:179], v[8:9]
	v_add_f64 v[10:11], v[72:73], v[10:11]
	v_fma_f64 v[8:9], v[178:179], s[18:19], -v[8:9]
	v_add_f64 v[28:29], v[52:53], v[28:29]
	v_fma_f64 v[52:53], v[190:191], s[0:1], -v[50:51]
	v_mul_f64 v[48:49], v[48:49], s[30:31]
	v_fmac_f64_e32 v[50:51], s[0:1], v[190:191]
	v_add_f64 v[8:9], v[74:75], v[8:9]
	v_add_f64 v[44:45], v[52:53], v[44:45]
	v_fma_f64 v[52:53], s[0:1], v[192:193], v[48:49]
	v_add_f64 v[10:11], v[50:51], v[10:11]
	v_fma_f64 v[48:49], v[192:193], s[0:1], -v[48:49]
	v_add_f64 v[50:51], v[86:87], -v[106:107]
	v_add_f64 v[46:47], v[74:75], v[46:47]
	v_add_f64 v[8:9], v[48:49], v[8:9]
	v_add_f64 v[202:203], v[84:85], v[104:105]
	v_add_f64 v[48:49], v[84:85], -v[104:105]
	v_mul_f64 v[188:189], v[50:51], s[20:21]
	v_add_f64 v[46:47], v[52:53], v[46:47]
	v_add_f64 v[204:205], v[86:87], v[106:107]
	v_mul_f64 v[194:195], v[48:49], s[20:21]
	v_fma_f64 v[52:53], s[12:13], v[202:203], v[188:189]
	v_add_f64 v[12:13], v[52:53], v[12:13]
	v_fma_f64 v[52:53], v[204:205], s[12:13], -v[194:195]
	v_mul_f64 v[196:197], v[50:51], s[38:39]
	v_add_f64 v[14:15], v[52:53], v[14:15]
	v_mul_f64 v[198:199], v[48:49], s[38:39]
	v_fma_f64 v[52:53], s[18:19], v[202:203], v[196:197]
	v_add_f64 v[16:17], v[52:53], v[16:17]
	v_fma_f64 v[52:53], v[204:205], s[18:19], -v[198:199]
	v_mul_f64 v[200:201], v[50:51], s[28:29]
	v_add_f64 v[18:19], v[52:53], v[18:19]
	v_mul_f64 v[206:207], v[48:49], s[28:29]
	v_fma_f64 v[52:53], s[8:9], v[202:203], v[200:201]
	v_add_f64 v[20:21], v[52:53], v[20:21]
	v_fma_f64 v[52:53], v[204:205], s[8:9], -v[206:207]
	v_add_f64 v[22:23], v[52:53], v[22:23]
	v_mul_f64 v[52:53], v[50:51], s[24:25]
	v_fma_f64 v[56:57], s[12:13], v[192:193], v[54:55]
	v_fma_f64 v[54:55], v[202:203], s[0:1], -v[52:53]
	v_add_f64 v[26:27], v[54:55], v[26:27]
	v_mul_f64 v[54:55], v[48:49], s[24:25]
	v_fmac_f64_e32 v[52:53], s[0:1], v[202:203]
	v_add_f64 v[24:25], v[52:53], v[24:25]
	v_fma_f64 v[52:53], v[204:205], s[0:1], -v[54:55]
	v_mul_f64 v[50:51], v[50:51], s[22:23]
	v_add_f64 v[28:29], v[52:53], v[28:29]
	v_fma_f64 v[52:53], v[202:203], s[14:15], -v[50:51]
	v_mul_f64 v[48:49], v[48:49], s[22:23]
	v_fmac_f64_e32 v[50:51], s[14:15], v[202:203]
	v_add_f64 v[44:45], v[52:53], v[44:45]
	v_fma_f64 v[52:53], s[14:15], v[204:205], v[48:49]
	v_add_f64 v[10:11], v[50:51], v[10:11]
	v_fma_f64 v[48:49], v[204:205], s[14:15], -v[48:49]
	v_add_f64 v[50:51], v[90:91], -v[102:103]
	v_add_f64 v[8:9], v[48:49], v[8:9]
	v_add_f64 v[218:219], v[88:89], v[100:101]
	v_add_f64 v[48:49], v[88:89], -v[100:101]
	v_mul_f64 v[208:209], v[50:51], s[22:23]
	v_add_f64 v[46:47], v[52:53], v[46:47]
	v_add_f64 v[222:223], v[90:91], v[102:103]
	v_mul_f64 v[210:211], v[48:49], s[22:23]
	v_fma_f64 v[52:53], s[14:15], v[218:219], v[208:209]
	v_add_f64 v[12:13], v[52:53], v[12:13]
	v_fma_f64 v[52:53], v[222:223], s[14:15], -v[210:211]
	v_mul_f64 v[212:213], v[50:51], s[34:35]
	v_add_f64 v[14:15], v[52:53], v[14:15]
	v_mul_f64 v[214:215], v[48:49], s[34:35]
	v_fma_f64 v[52:53], s[12:13], v[218:219], v[212:213]
	v_add_f64 v[16:17], v[52:53], v[16:17]
	v_fma_f64 v[52:53], v[222:223], s[12:13], -v[214:215]
	v_mul_f64 v[216:217], v[50:51], s[24:25]
	v_add_f64 v[18:19], v[52:53], v[18:19]
	v_mul_f64 v[224:225], v[48:49], s[24:25]
	v_fma_f64 v[52:53], s[0:1], v[218:219], v[216:217]
	v_add_f64 v[20:21], v[52:53], v[20:21]
	v_fma_f64 v[52:53], v[222:223], s[0:1], -v[224:225]
	v_add_f64 v[30:31], v[74:75], v[30:31]
	v_add_f64 v[22:23], v[52:53], v[22:23]
	v_mul_f64 v[52:53], v[50:51], s[26:27]
	v_add_f64 v[30:31], v[56:57], v[30:31]
	v_fma_f64 v[56:57], s[0:1], v[204:205], v[54:55]
	v_fma_f64 v[54:55], v[218:219], s[18:19], -v[52:53]
	v_add_f64 v[26:27], v[54:55], v[26:27]
	v_mul_f64 v[54:55], v[48:49], s[26:27]
	v_fmac_f64_e32 v[52:53], s[18:19], v[218:219]
	v_add_f64 v[24:25], v[52:53], v[24:25]
	v_fma_f64 v[52:53], v[222:223], s[18:19], -v[54:55]
	v_mul_f64 v[50:51], v[50:51], s[28:29]
	v_add_f64 v[28:29], v[52:53], v[28:29]
	v_fma_f64 v[52:53], v[218:219], s[8:9], -v[50:51]
	v_add_f64 v[64:65], v[52:53], v[44:45]
	v_mul_f64 v[44:45], v[48:49], s[28:29]
	v_fmac_f64_e32 v[50:51], s[8:9], v[218:219]
	v_add_f64 v[240:241], v[94:95], -v[98:99]
	v_add_f64 v[68:69], v[50:51], v[10:11]
	v_fma_f64 v[10:11], v[222:223], s[8:9], -v[44:45]
	v_add_f64 v[232:233], v[92:93], v[96:97]
	v_add_f64 v[238:239], v[92:93], -v[96:97]
	v_mul_f64 v[226:227], v[240:241], s[26:27]
	v_add_f64 v[70:71], v[10:11], v[8:9]
	v_add_f64 v[234:235], v[94:95], v[98:99]
	v_mul_f64 v[228:229], v[238:239], s[26:27]
	v_fma_f64 v[8:9], s[18:19], v[232:233], v[226:227]
	v_fma_f64 v[48:49], s[8:9], v[222:223], v[44:45]
	v_add_f64 v[44:45], v[8:9], v[12:13]
	v_fma_f64 v[8:9], v[234:235], s[18:19], -v[228:229]
	v_mul_f64 v[230:231], v[240:241], s[30:31]
	v_add_f64 v[66:67], v[48:49], v[46:47]
	v_add_f64 v[46:47], v[8:9], v[14:15]
	v_mul_f64 v[236:237], v[238:239], s[30:31]
	v_fma_f64 v[8:9], s[0:1], v[232:233], v[230:231]
	v_add_f64 v[48:49], v[8:9], v[16:17]
	v_fma_f64 v[8:9], v[234:235], s[0:1], -v[236:237]
	v_add_f64 v[50:51], v[8:9], v[18:19]
	v_mul_f64 v[8:9], v[240:241], s[22:23]
	v_add_f64 v[30:31], v[56:57], v[30:31]
	v_fma_f64 v[56:57], s[18:19], v[222:223], v[54:55]
	v_mul_f64 v[10:11], v[238:239], s[22:23]
	v_fma_f64 v[12:13], s[14:15], v[232:233], v[8:9]
	v_add_f64 v[30:31], v[56:57], v[30:31]
	v_add_f64 v[56:57], v[12:13], v[20:21]
	v_fma_f64 v[12:13], v[234:235], s[14:15], -v[10:11]
	v_add_f64 v[58:59], v[12:13], v[22:23]
	v_mul_f64 v[12:13], v[240:241], s[28:29]
	v_fma_f64 v[14:15], v[232:233], s[8:9], -v[12:13]
	v_add_f64 v[52:53], v[14:15], v[26:27]
	v_mul_f64 v[14:15], v[238:239], s[28:29]
	v_fmac_f64_e32 v[12:13], s[8:9], v[232:233]
	v_add_f64 v[60:61], v[12:13], v[24:25]
	v_fma_f64 v[12:13], v[234:235], s[8:9], -v[14:15]
	v_add_f64 v[62:63], v[12:13], v[28:29]
	v_mul_f64 v[12:13], v[240:241], s[20:21]
	v_fma_f64 v[16:17], s[8:9], v[234:235], v[14:15]
	v_fma_f64 v[14:15], v[232:233], s[12:13], -v[12:13]
	v_add_f64 v[64:65], v[14:15], v[64:65]
	v_mul_f64 v[14:15], v[238:239], s[20:21]
	v_add_f64 v[54:55], v[16:17], v[30:31]
	v_fma_f64 v[16:17], s[12:13], v[234:235], v[14:15]
	v_fmac_f64_e32 v[12:13], s[12:13], v[232:233]
	v_add_f64 v[66:67], v[16:17], v[66:67]
	v_add_f64 v[16:17], v[12:13], v[68:69]
	v_fma_f64 v[12:13], v[234:235], s[12:13], -v[14:15]
	v_add_f64 v[18:19], v[12:13], v[70:71]
	v_lshl_add_u64 v[220:221], v[4:5], 0, 55
	v_accvgpr_write_b32 a2, v4
	v_accvgpr_write_b32 a51, v19
	v_mul_lo_u16_e32 v1, 11, v4
	v_accvgpr_write_b32 a3, v5
	v_accvgpr_write_b32 a50, v18
	;; [unrolled: 1-line block ×4, first 2 shown]
	v_lshlrev_b32_e32 v7, 4, v1
	v_mul_u32_u24_e32 v68, 11, v220
	s_waitcnt lgkmcnt(0)
	; wave barrier
	ds_write_b128 v7, v[116:119]
	ds_write_b128 v7, v[128:131] offset:16
	ds_write_b128 v7, v[136:139] offset:32
	;; [unrolled: 1-line block ×10, first 2 shown]
	s_and_saveexec_b64 s[20:21], vcc
	s_cbranch_execz .LBB0_7
; %bb.6:
	v_mul_f64 v[22:23], v[178:179], s[12:13]
	v_mul_f64 v[118:119], v[192:193], s[18:19]
	v_add_f64 v[22:23], v[170:171], v[22:23]
	v_mul_f64 v[20:21], v[176:177], s[12:13]
	v_mul_f64 v[130:131], v[204:205], s[8:9]
	v_add_f64 v[118:119], v[186:187], v[118:119]
	v_add_f64 v[22:23], v[74:75], v[22:23]
	v_mul_f64 v[14:15], v[178:179], s[8:9]
	v_mul_f64 v[116:117], v[190:191], s[18:19]
	;; [unrolled: 1-line block ×3, first 2 shown]
	v_add_f64 v[130:131], v[206:207], v[130:131]
	v_add_f64 v[22:23], v[118:119], v[22:23]
	v_add_f64 v[20:21], v[20:21], -v[168:169]
	v_mul_f64 v[12:13], v[176:177], s[8:9]
	v_mul_f64 v[30:31], v[192:193], s[14:15]
	;; [unrolled: 1-line block ×4, first 2 shown]
	v_add_f64 v[142:143], v[224:225], v[142:143]
	v_add_f64 v[22:23], v[130:131], v[22:23]
	v_add_f64 v[116:117], v[116:117], -v[184:185]
	v_add_f64 v[20:21], v[72:73], v[20:21]
	v_add_f64 v[14:15], v[166:167], v[14:15]
	v_mul_f64 v[18:19], v[178:179], s[0:1]
	v_mul_f64 v[28:29], v[190:191], s[14:15]
	;; [unrolled: 1-line block ×4, first 2 shown]
	v_add_f64 v[10:11], v[10:11], v[154:155]
	v_add_f64 v[22:23], v[142:143], v[22:23]
	v_add_f64 v[118:119], v[128:129], -v[200:201]
	v_add_f64 v[20:21], v[116:117], v[20:21]
	v_add_f64 v[30:31], v[182:183], v[30:31]
	v_add_f64 v[14:15], v[74:75], v[14:15]
	v_add_f64 v[12:13], v[12:13], -v[164:165]
	v_mul_f64 v[26:27], v[192:193], s[8:9]
	v_mul_f64 v[124:125], v[202:203], s[18:19]
	;; [unrolled: 1-line block ×4, first 2 shown]
	v_add_f64 v[10:11], v[10:11], v[22:23]
	v_add_f64 v[22:23], v[140:141], -v[216:217]
	v_add_f64 v[20:21], v[118:119], v[20:21]
	v_add_f64 v[116:117], v[198:199], v[126:127]
	;; [unrolled: 1-line block ×3, first 2 shown]
	v_add_f64 v[28:29], v[28:29], -v[180:181]
	v_add_f64 v[12:13], v[72:73], v[12:13]
	v_add_f64 v[18:19], v[162:163], v[18:19]
	v_mul_f64 v[16:17], v[176:177], s[0:1]
	v_mul_f64 v[122:123], v[204:205], s[12:13]
	;; [unrolled: 1-line block ×4, first 2 shown]
	v_add_f64 v[8:9], v[152:153], -v[8:9]
	v_add_f64 v[20:21], v[22:23], v[20:21]
	v_add_f64 v[22:23], v[214:215], v[138:139]
	;; [unrolled: 1-line block ×3, first 2 shown]
	v_add_f64 v[30:31], v[124:125], -v[196:197]
	v_add_f64 v[12:13], v[28:29], v[12:13]
	v_add_f64 v[26:27], v[174:175], v[26:27]
	;; [unrolled: 1-line block ×3, first 2 shown]
	v_mul_f64 v[24:25], v[190:191], s[8:9]
	v_mul_f64 v[134:135], v[222:223], s[14:15]
	;; [unrolled: 1-line block ×3, first 2 shown]
	v_add_f64 v[8:9], v[8:9], v[20:21]
	v_add_f64 v[20:21], v[236:237], v[150:151]
	;; [unrolled: 1-line block ×3, first 2 shown]
	v_add_f64 v[22:23], v[136:137], -v[212:213]
	v_add_f64 v[12:13], v[30:31], v[12:13]
	v_add_f64 v[28:29], v[194:195], v[122:123]
	;; [unrolled: 1-line block ×3, first 2 shown]
	v_add_f64 v[16:17], v[16:17], -v[160:161]
	v_mul_f64 v[120:121], v[202:203], s[12:13]
	v_mul_f64 v[146:147], v[234:235], s[18:19]
	v_add_f64 v[14:15], v[20:21], v[14:15]
	v_add_f64 v[20:21], v[148:149], -v[230:231]
	v_add_f64 v[12:13], v[22:23], v[12:13]
	v_add_f64 v[22:23], v[210:211], v[134:135]
	;; [unrolled: 1-line block ×3, first 2 shown]
	v_add_f64 v[24:25], v[24:25], -v[172:173]
	v_add_f64 v[16:17], v[72:73], v[16:17]
	v_mul_f64 v[132:133], v[218:219], s[14:15]
	v_add_f64 v[12:13], v[20:21], v[12:13]
	v_add_f64 v[20:21], v[228:229], v[146:147]
	;; [unrolled: 1-line block ×3, first 2 shown]
	v_add_f64 v[22:23], v[120:121], -v[188:189]
	v_add_f64 v[16:17], v[24:25], v[16:17]
	v_mul_f64 v[144:145], v[232:233], s[18:19]
	v_add_f64 v[118:119], v[20:21], v[18:19]
	v_add_f64 v[20:21], v[132:133], -v[208:209]
	v_add_f64 v[16:17], v[22:23], v[16:17]
	v_add_f64 v[18:19], v[144:145], -v[226:227]
	v_add_f64 v[16:17], v[20:21], v[16:17]
	v_add_f64 v[116:117], v[18:19], v[16:17]
	;; [unrolled: 1-line block ×20, first 2 shown]
	v_accvgpr_read_b32 v5, a3
	v_add_f64 v[16:17], v[16:17], v[108:109]
	v_accvgpr_read_b32 v4, a2
	v_add_f64 v[72:73], v[16:17], v[112:113]
	v_lshlrev_b32_e32 v1, 4, v68
	ds_write_b128 v1, v[72:75]
	ds_write_b128 v1, v[116:119] offset:16
	ds_write_b128 v1, v[12:15] offset:32
	;; [unrolled: 1-line block ×10, first 2 shown]
.LBB0_7:
	s_or_b64 exec, exec, s[20:21]
	s_mov_b64 s[0:1], 0x6e
	v_lshl_add_u64 v[226:227], v[4:5], 0, s[0:1]
	s_movk_i32 s0, 0x75
	v_mul_lo_u16_sdwa v1, v4, s0 dst_sel:DWORD dst_unused:UNUSED_PAD src0_sel:BYTE_0 src1_sel:DWORD
	v_sub_u16_sdwa v2, v4, v1 dst_sel:DWORD dst_unused:UNUSED_PAD src0_sel:DWORD src1_sel:BYTE_1
	v_lshrrev_b16_e32 v2, 1, v2
	v_and_b32_e32 v2, 0x7f, v2
	v_add_u16_sdwa v1, v2, v1 dst_sel:DWORD dst_unused:UNUSED_PAD src0_sel:DWORD src1_sel:BYTE_1
	v_lshrrev_b16_e32 v1, 3, v1
	v_mul_lo_u16_e32 v2, 11, v1
	v_sub_u16_e32 v2, v4, v2
	v_and_b32_e32 v5, 0xff, v2
	v_lshlrev_b32_e32 v2, 6, v5
	s_waitcnt lgkmcnt(0)
	; wave barrier
	s_waitcnt lgkmcnt(0)
	ds_read_b128 v[128:131], v0
	ds_read_b128 v[12:15], v0 offset:2640
	ds_read_b128 v[88:91], v0 offset:5280
	;; [unrolled: 1-line block ×14, first 2 shown]
	global_load_dwordx4 v[72:75], v2, s[2:3] offset:48
	global_load_dwordx4 v[76:79], v2, s[2:3] offset:32
	;; [unrolled: 1-line block ×3, first 2 shown]
	global_load_dwordx4 v[84:87], v2, s[2:3]
	v_mul_lo_u16_sdwa v2, v220, s0 dst_sel:DWORD dst_unused:UNUSED_PAD src0_sel:BYTE_0 src1_sel:DWORD
	v_sub_u16_sdwa v3, v220, v2 dst_sel:DWORD dst_unused:UNUSED_PAD src0_sel:DWORD src1_sel:BYTE_1
	v_lshrrev_b16_e32 v3, 1, v3
	v_and_b32_e32 v3, 0x7f, v3
	v_add_u16_sdwa v2, v3, v2 dst_sel:DWORD dst_unused:UNUSED_PAD src0_sel:DWORD src1_sel:BYTE_1
	s_mov_b32 s8, 0x134454ff
	v_lshlrev_b32_e32 v224, 4, v4
	v_mov_b32_e32 v225, 0
	s_mov_b32 s9, 0x3fee6f0e
	s_mov_b32 s15, 0xbfee6f0e
	;; [unrolled: 1-line block ×3, first 2 shown]
	v_lshl_add_u64 v[222:223], s[16:17], 0, v[224:225]
	s_mov_b32 s12, 0x372fe950
	s_mov_b32 s17, 0xbfe2cf23
	;; [unrolled: 1-line block ×3, first 2 shown]
	v_mul_u32_u24_e32 v1, 55, v1
	v_add_lshl_u32 v1, v1, v5, 4
	v_accvgpr_write_b32 a3, v1
	v_lshlrev_b32_e32 v224, 6, v4
	s_movk_i32 s18, 0x95
	v_lshlrev_b32_e32 v10, 5, v4
	v_lshl_add_u64 v[228:229], s[2:3], 0, v[224:225]
	s_waitcnt vmcnt(3) lgkmcnt(10)
	v_mul_f64 v[154:155], v[96:97], v[74:75]
	s_waitcnt vmcnt(2)
	v_mul_f64 v[152:153], v[92:93], v[78:79]
	s_waitcnt vmcnt(1)
	v_mul_f64 v[150:151], v[88:89], v[82:83]
	s_waitcnt vmcnt(0)
	v_mul_f64 v[8:9], v[14:15], v[86:87]
	v_fma_f64 v[156:157], v[12:13], v[84:85], -v[8:9]
	v_mul_f64 v[8:9], v[90:91], v[82:83]
	v_fma_f64 v[160:161], v[88:89], v[80:81], -v[8:9]
	;; [unrolled: 2-line block ×4, first 2 shown]
	v_lshrrev_b16_e32 v8, 3, v2
	v_mul_lo_u16_e32 v2, 11, v8
	v_sub_u16_e32 v2, v220, v2
	v_and_b32_e32 v9, 0xff, v2
	v_lshlrev_b32_e32 v2, 6, v9
	v_fmac_f64_e32 v[150:151], v[90:91], v[80:81]
	v_fmac_f64_e32 v[152:153], v[94:95], v[76:77]
	;; [unrolled: 1-line block ×3, first 2 shown]
	global_load_dwordx4 v[88:91], v2, s[2:3] offset:48
	global_load_dwordx4 v[92:95], v2, s[2:3] offset:32
	;; [unrolled: 1-line block ×3, first 2 shown]
	global_load_dwordx4 v[100:103], v2, s[2:3]
	v_mul_lo_u16_sdwa v2, v226, s0 dst_sel:DWORD dst_unused:UNUSED_PAD src0_sel:BYTE_0 src1_sel:DWORD
	v_sub_u16_sdwa v3, v226, v2 dst_sel:DWORD dst_unused:UNUSED_PAD src0_sel:DWORD src1_sel:BYTE_1
	v_lshrrev_b16_e32 v3, 1, v3
	v_and_b32_e32 v3, 0x7f, v3
	v_mul_f64 v[148:149], v[12:13], v[86:87]
	v_add_u16_sdwa v2, v3, v2 dst_sel:DWORD dst_unused:UNUSED_PAD src0_sel:DWORD src1_sel:BYTE_1
	v_lshrrev_b16_e32 v11, 3, v2
	v_mul_lo_u16_e32 v2, 11, v11
	v_sub_u16_e32 v2, v226, v2
	v_fmac_f64_e32 v[148:149], v[14:15], v[84:85]
	s_mov_b32 s0, 0x4755a5e
	v_add_f64 v[16:17], v[150:151], -v[152:153]
	s_mov_b32 s1, 0x3fe2cf23
	v_add_f64 v[18:19], v[156:157], -v[160:161]
	v_add_f64 v[20:21], v[170:171], -v[164:165]
	s_mov_b32 s16, s0
	v_add_f64 v[18:19], v[18:19], v[20:21]
	v_add_f64 v[20:21], v[164:165], -v[170:171]
	s_waitcnt vmcnt(3) lgkmcnt(5)
	v_mul_f64 v[168:169], v[104:105], v[90:91]
	s_waitcnt vmcnt(2)
	v_mul_f64 v[166:167], v[108:109], v[94:95]
	s_waitcnt vmcnt(1)
	;; [unrolled: 2-line block ×3, first 2 shown]
	v_mul_f64 v[12:13], v[118:119], v[102:103]
	v_fma_f64 v[172:173], v[116:117], v[100:101], -v[12:13]
	v_mul_f64 v[12:13], v[114:115], v[98:99]
	v_fma_f64 v[174:175], v[112:113], v[96:97], -v[12:13]
	;; [unrolled: 2-line block ×4, first 2 shown]
	v_and_b32_e32 v12, 0xff, v2
	v_mul_f64 v[158:159], v[116:117], v[102:103]
	v_lshlrev_b32_e32 v2, 6, v12
	v_fmac_f64_e32 v[158:159], v[118:119], v[100:101]
	v_fmac_f64_e32 v[162:163], v[114:115], v[96:97]
	;; [unrolled: 1-line block ×4, first 2 shown]
	global_load_dwordx4 v[104:107], v2, s[2:3] offset:48
	global_load_dwordx4 v[108:111], v2, s[2:3] offset:32
	;; [unrolled: 1-line block ×3, first 2 shown]
	global_load_dwordx4 v[116:119], v2, s[2:3]
	s_waitcnt lgkmcnt(0)
	; wave barrier
	s_waitcnt vmcnt(3) lgkmcnt(0)
	v_mul_f64 v[186:187], v[132:133], v[106:107]
	s_waitcnt vmcnt(2)
	v_mul_f64 v[184:185], v[136:137], v[110:111]
	s_waitcnt vmcnt(1)
	v_mul_f64 v[182:183], v[140:141], v[114:115]
	s_waitcnt vmcnt(0)
	v_mul_f64 v[14:15], v[146:147], v[118:119]
	v_fma_f64 v[188:189], v[144:145], v[116:117], -v[14:15]
	v_mul_f64 v[14:15], v[142:143], v[114:115]
	v_fma_f64 v[190:191], v[140:141], v[112:113], -v[14:15]
	;; [unrolled: 2-line block ×4, first 2 shown]
	v_add_f64 v[14:15], v[128:129], v[156:157]
	v_add_f64 v[14:15], v[14:15], v[160:161]
	;; [unrolled: 1-line block ×5, first 2 shown]
	v_fma_f64 v[132:133], -0.5, v[14:15], v[128:129]
	v_add_f64 v[14:15], v[148:149], -v[154:155]
	v_fma_f64 v[140:141], s[8:9], v[14:15], v[132:133]
	v_fmac_f64_e32 v[132:133], s[14:15], v[14:15]
	v_fmac_f64_e32 v[140:141], s[0:1], v[16:17]
	;; [unrolled: 1-line block ×5, first 2 shown]
	v_add_f64 v[18:19], v[156:157], v[170:171]
	v_fmac_f64_e32 v[128:129], -0.5, v[18:19]
	v_mul_f64 v[180:181], v[144:145], v[118:119]
	v_fma_f64 v[144:145], s[14:15], v[16:17], v[128:129]
	v_fmac_f64_e32 v[128:129], s[8:9], v[16:17]
	v_fmac_f64_e32 v[144:145], s[0:1], v[14:15]
	v_fmac_f64_e32 v[128:129], s[16:17], v[14:15]
	v_add_f64 v[14:15], v[130:131], v[148:149]
	v_add_f64 v[14:15], v[14:15], v[150:151]
	;; [unrolled: 1-line block ×3, first 2 shown]
	v_fmac_f64_e32 v[184:185], v[138:139], v[108:109]
	v_add_f64 v[18:19], v[160:161], -v[156:157]
	v_add_f64 v[138:139], v[14:15], v[154:155]
	v_add_f64 v[14:15], v[150:151], v[152:153]
	v_fmac_f64_e32 v[186:187], v[134:135], v[104:105]
	v_add_f64 v[18:19], v[18:19], v[20:21]
	v_fma_f64 v[134:135], -0.5, v[14:15], v[130:131]
	v_add_f64 v[14:15], v[156:157], -v[170:171]
	v_fmac_f64_e32 v[182:183], v[142:143], v[112:113]
	v_fmac_f64_e32 v[144:145], s[12:13], v[18:19]
	;; [unrolled: 1-line block ×3, first 2 shown]
	v_fma_f64 v[142:143], s[14:15], v[14:15], v[134:135]
	v_add_f64 v[16:17], v[160:161], -v[164:165]
	v_add_f64 v[18:19], v[148:149], -v[150:151]
	;; [unrolled: 1-line block ×3, first 2 shown]
	v_fmac_f64_e32 v[134:135], s[8:9], v[14:15]
	v_fmac_f64_e32 v[142:143], s[16:17], v[16:17]
	v_add_f64 v[18:19], v[18:19], v[20:21]
	v_fmac_f64_e32 v[134:135], s[0:1], v[16:17]
	v_fmac_f64_e32 v[142:143], s[12:13], v[18:19]
	;; [unrolled: 1-line block ×3, first 2 shown]
	v_add_f64 v[18:19], v[148:149], v[154:155]
	v_fmac_f64_e32 v[130:131], -0.5, v[18:19]
	v_fmac_f64_e32 v[180:181], v[146:147], v[116:117]
	v_fma_f64 v[146:147], s[8:9], v[16:17], v[130:131]
	v_fmac_f64_e32 v[130:131], s[14:15], v[16:17]
	v_fmac_f64_e32 v[146:147], s[16:17], v[14:15]
	v_fmac_f64_e32 v[130:131], s[0:1], v[14:15]
	v_add_f64 v[14:15], v[124:125], v[172:173]
	v_add_f64 v[14:15], v[14:15], v[174:175]
	v_add_f64 v[14:15], v[14:15], v[176:177]
	v_add_f64 v[18:19], v[150:151], -v[148:149]
	v_add_f64 v[20:21], v[152:153], -v[154:155]
	v_add_f64 v[148:149], v[14:15], v[178:179]
	v_add_f64 v[14:15], v[174:175], v[176:177]
	v_add_f64 v[18:19], v[18:19], v[20:21]
	v_fma_f64 v[152:153], -0.5, v[14:15], v[124:125]
	v_add_f64 v[14:15], v[158:159], -v[168:169]
	v_fmac_f64_e32 v[146:147], s[12:13], v[18:19]
	v_fmac_f64_e32 v[130:131], s[12:13], v[18:19]
	v_fma_f64 v[170:171], s[8:9], v[14:15], v[152:153]
	v_add_f64 v[16:17], v[162:163], -v[166:167]
	v_add_f64 v[18:19], v[172:173], -v[174:175]
	v_add_f64 v[20:21], v[178:179], -v[176:177]
	v_fmac_f64_e32 v[152:153], s[14:15], v[14:15]
	v_fmac_f64_e32 v[170:171], s[0:1], v[16:17]
	v_add_f64 v[18:19], v[18:19], v[20:21]
	v_fmac_f64_e32 v[152:153], s[16:17], v[16:17]
	v_fmac_f64_e32 v[170:171], s[12:13], v[18:19]
	v_fmac_f64_e32 v[152:153], s[12:13], v[18:19]
	v_add_f64 v[18:19], v[172:173], v[178:179]
	v_fmac_f64_e32 v[124:125], -0.5, v[18:19]
	v_fma_f64 v[196:197], s[14:15], v[16:17], v[124:125]
	v_fmac_f64_e32 v[124:125], s[8:9], v[16:17]
	v_fmac_f64_e32 v[196:197], s[0:1], v[14:15]
	v_fmac_f64_e32 v[124:125], s[16:17], v[14:15]
	v_add_f64 v[14:15], v[126:127], v[158:159]
	v_add_f64 v[14:15], v[14:15], v[162:163]
	v_add_f64 v[14:15], v[14:15], v[166:167]
	v_add_f64 v[18:19], v[174:175], -v[172:173]
	v_add_f64 v[20:21], v[176:177], -v[178:179]
	v_add_f64 v[150:151], v[14:15], v[168:169]
	v_add_f64 v[14:15], v[162:163], v[166:167]
	v_add_f64 v[18:19], v[18:19], v[20:21]
	v_fma_f64 v[154:155], -0.5, v[14:15], v[126:127]
	v_add_f64 v[14:15], v[172:173], -v[178:179]
	v_fmac_f64_e32 v[196:197], s[12:13], v[18:19]
	v_fmac_f64_e32 v[124:125], s[12:13], v[18:19]
	v_fma_f64 v[172:173], s[14:15], v[14:15], v[154:155]
	v_add_f64 v[16:17], v[174:175], -v[176:177]
	v_add_f64 v[18:19], v[158:159], -v[162:163]
	v_add_f64 v[20:21], v[168:169], -v[166:167]
	v_fmac_f64_e32 v[154:155], s[8:9], v[14:15]
	v_fmac_f64_e32 v[172:173], s[16:17], v[16:17]
	v_add_f64 v[18:19], v[18:19], v[20:21]
	v_fmac_f64_e32 v[154:155], s[0:1], v[16:17]
	v_fmac_f64_e32 v[172:173], s[12:13], v[18:19]
	v_fmac_f64_e32 v[154:155], s[12:13], v[18:19]
	v_add_f64 v[18:19], v[158:159], v[168:169]
	v_fmac_f64_e32 v[126:127], -0.5, v[18:19]
	;; [unrolled: 28-line block ×4, first 2 shown]
	ds_write_b128 v1, v[136:139]
	ds_write_b128 v1, v[140:143] offset:176
	ds_write_b128 v1, v[144:147] offset:352
	;; [unrolled: 1-line block ×4, first 2 shown]
	v_mul_u32_u24_e32 v1, 55, v8
	v_fma_f64 v[176:177], s[8:9], v[16:17], v[122:123]
	v_add_f64 v[18:19], v[182:183], -v[180:181]
	v_add_f64 v[20:21], v[184:185], -v[186:187]
	v_fmac_f64_e32 v[122:123], s[14:15], v[16:17]
	v_add_lshl_u32 v1, v1, v9, 4
	v_fmac_f64_e32 v[176:177], s[16:17], v[14:15]
	v_add_f64 v[18:19], v[18:19], v[20:21]
	v_fmac_f64_e32 v[122:123], s[0:1], v[14:15]
	ds_write_b128 v1, v[148:151]
	ds_write_b128 v1, v[170:173] offset:176
	ds_write_b128 v1, v[196:199] offset:352
	ds_write_b128 v1, v[124:127] offset:528
	v_accvgpr_write_b32 a56, v1
	ds_write_b128 v1, v[152:155] offset:704
	v_mul_u32_u24_e32 v1, 55, v11
	v_fmac_f64_e32 v[176:177], s[12:13], v[18:19]
	v_fmac_f64_e32 v[122:123], s[12:13], v[18:19]
	v_add_lshl_u32 v1, v1, v12, 4
	ds_write_b128 v1, v[156:159]
	ds_write_b128 v1, v[164:167] offset:176
	ds_write_b128 v1, v[174:177] offset:352
	ds_write_b128 v1, v[120:123] offset:528
	ds_write_b128 v1, v[160:163] offset:704
	s_waitcnt lgkmcnt(0)
	; wave barrier
	s_waitcnt lgkmcnt(0)
	ds_read_b128 v[160:163], v0
	ds_read_b128 v[136:139], v0 offset:2640
	ds_read_b128 v[140:143], v0 offset:5280
	;; [unrolled: 1-line block ×14, first 2 shown]
	global_load_dwordx4 v[120:123], v224, s[2:3] offset:752
	global_load_dwordx4 v[124:127], v224, s[2:3] offset:736
	;; [unrolled: 1-line block ×4, first 2 shown]
	v_accvgpr_write_b32 a57, v1
	v_mul_lo_u16_sdwa v1, v226, s18 dst_sel:DWORD dst_unused:UNUSED_PAD src0_sel:BYTE_0 src1_sel:DWORD
	v_lshrrev_b16_e32 v1, 13, v1
	v_mul_lo_u16_e32 v1, 55, v1
	v_sub_u16_e32 v11, v226, v1
	v_mov_b32_e32 v1, 6
	v_lshlrev_b32_sdwa v1, v1, v11 dst_sel:DWORD dst_unused:UNUSED_PAD src0_sel:DWORD src1_sel:BYTE_0
	v_lshlrev_b32_e32 v224, 5, v220
	s_waitcnt vmcnt(3) lgkmcnt(10)
	v_mul_f64 v[202:203], v[148:149], v[122:123]
	s_waitcnt vmcnt(2)
	v_mul_f64 v[200:201], v[144:145], v[126:127]
	s_waitcnt vmcnt(1)
	;; [unrolled: 2-line block ×3, first 2 shown]
	v_mul_f64 v[8:9], v[138:139], v[134:135]
	v_fma_f64 v[204:205], v[136:137], v[132:133], -v[8:9]
	v_mul_f64 v[8:9], v[142:143], v[130:131]
	v_fma_f64 v[206:207], v[140:141], v[128:129], -v[8:9]
	v_mul_f64 v[8:9], v[146:147], v[126:127]
	v_mul_f64 v[196:197], v[136:137], v[134:135]
	v_fma_f64 v[208:209], v[144:145], v[124:125], -v[8:9]
	v_mul_f64 v[8:9], v[150:151], v[122:123]
	v_fmac_f64_e32 v[196:197], v[138:139], v[132:133]
	v_fmac_f64_e32 v[198:199], v[142:143], v[128:129]
	;; [unrolled: 1-line block ×3, first 2 shown]
	v_fma_f64 v[210:211], v[148:149], v[120:121], -v[8:9]
	v_fmac_f64_e32 v[202:203], v[150:151], v[120:121]
	global_load_dwordx4 v[136:139], v1, s[2:3] offset:752
	global_load_dwordx4 v[140:143], v1, s[2:3] offset:736
	;; [unrolled: 1-line block ×4, first 2 shown]
	s_waitcnt lgkmcnt(8)
	v_mul_f64 v[8:9], v[182:183], v[134:135]
	v_fma_f64 v[188:189], v[180:181], v[132:133], -v[8:9]
	s_waitcnt lgkmcnt(7)
	v_mul_f64 v[8:9], v[186:187], v[130:131]
	v_fma_f64 v[190:191], v[184:185], v[128:129], -v[8:9]
	;; [unrolled: 3-line block ×4, first 2 shown]
	v_add_f64 v[14:15], v[160:161], v[204:205]
	v_mul_f64 v[180:181], v[180:181], v[134:135]
	v_add_f64 v[14:15], v[14:15], v[206:207]
	v_fmac_f64_e32 v[180:181], v[182:183], v[132:133]
	v_mul_f64 v[182:183], v[184:185], v[130:131]
	v_add_f64 v[14:15], v[14:15], v[208:209]
	v_fmac_f64_e32 v[182:183], v[186:187], v[128:129]
	v_mul_f64 v[186:187], v[216:217], v[122:123]
	v_mul_f64 v[184:185], v[212:213], v[126:127]
	v_fmac_f64_e32 v[186:187], v[218:219], v[120:121]
	v_fmac_f64_e32 v[184:185], v[214:215], v[124:125]
	v_add_f64 v[16:17], v[198:199], -v[200:201]
	v_add_f64 v[18:19], v[204:205], -v[206:207]
	;; [unrolled: 1-line block ×3, first 2 shown]
	v_add_f64 v[18:19], v[18:19], v[20:21]
	v_add_f64 v[20:21], v[208:209], -v[210:211]
	v_mov_b32_e32 v1, 4
	v_lshlrev_b32_sdwa v1, v1, v11 dst_sel:DWORD dst_unused:UNUSED_PAD src0_sel:DWORD src1_sel:BYTE_0
	s_waitcnt lgkmcnt(0)
	; wave barrier
	s_waitcnt vmcnt(3) lgkmcnt(0)
	v_mul_f64 v[218:219], v[164:165], v[138:139]
	s_waitcnt vmcnt(2)
	v_mul_f64 v[216:217], v[168:169], v[142:143]
	s_waitcnt vmcnt(1)
	;; [unrolled: 2-line block ×3, first 2 shown]
	v_mul_f64 v[8:9], v[178:179], v[150:151]
	v_fma_f64 v[230:231], v[176:177], v[148:149], -v[8:9]
	v_mul_f64 v[8:9], v[174:175], v[146:147]
	v_fma_f64 v[232:233], v[172:173], v[144:145], -v[8:9]
	;; [unrolled: 2-line block ×3, first 2 shown]
	v_mul_f64 v[8:9], v[166:167], v[138:139]
	v_add_f64 v[168:169], v[14:15], v[210:211]
	v_add_f64 v[14:15], v[206:207], v[208:209]
	v_fma_f64 v[8:9], v[164:165], v[136:137], -v[8:9]
	v_fma_f64 v[164:165], -0.5, v[14:15], v[160:161]
	v_add_f64 v[14:15], v[196:197], -v[202:203]
	v_fma_f64 v[172:173], s[8:9], v[14:15], v[164:165]
	v_fmac_f64_e32 v[164:165], s[14:15], v[14:15]
	v_fmac_f64_e32 v[172:173], s[0:1], v[16:17]
	;; [unrolled: 1-line block ×5, first 2 shown]
	v_add_f64 v[18:19], v[204:205], v[210:211]
	v_fmac_f64_e32 v[160:161], -0.5, v[18:19]
	v_mul_f64 v[212:213], v[176:177], v[150:151]
	v_fma_f64 v[176:177], s[14:15], v[16:17], v[160:161]
	v_fmac_f64_e32 v[160:161], s[8:9], v[16:17]
	v_fmac_f64_e32 v[176:177], s[0:1], v[14:15]
	;; [unrolled: 1-line block ×3, first 2 shown]
	v_add_f64 v[14:15], v[162:163], v[196:197]
	v_add_f64 v[14:15], v[14:15], v[198:199]
	;; [unrolled: 1-line block ×3, first 2 shown]
	v_fmac_f64_e32 v[216:217], v[170:171], v[140:141]
	v_add_f64 v[18:19], v[206:207], -v[204:205]
	v_add_f64 v[170:171], v[14:15], v[202:203]
	v_add_f64 v[14:15], v[198:199], v[200:201]
	v_fmac_f64_e32 v[218:219], v[166:167], v[136:137]
	v_add_f64 v[18:19], v[18:19], v[20:21]
	v_fma_f64 v[166:167], -0.5, v[14:15], v[162:163]
	v_add_f64 v[14:15], v[204:205], -v[210:211]
	v_fmac_f64_e32 v[214:215], v[174:175], v[144:145]
	v_fmac_f64_e32 v[176:177], s[12:13], v[18:19]
	;; [unrolled: 1-line block ×3, first 2 shown]
	v_fma_f64 v[174:175], s[14:15], v[14:15], v[166:167]
	v_add_f64 v[16:17], v[206:207], -v[208:209]
	v_add_f64 v[18:19], v[196:197], -v[198:199]
	;; [unrolled: 1-line block ×3, first 2 shown]
	v_fmac_f64_e32 v[166:167], s[8:9], v[14:15]
	v_fmac_f64_e32 v[174:175], s[16:17], v[16:17]
	v_add_f64 v[18:19], v[18:19], v[20:21]
	v_fmac_f64_e32 v[166:167], s[0:1], v[16:17]
	v_fmac_f64_e32 v[174:175], s[12:13], v[18:19]
	;; [unrolled: 1-line block ×3, first 2 shown]
	v_add_f64 v[18:19], v[196:197], v[202:203]
	v_fmac_f64_e32 v[162:163], -0.5, v[18:19]
	v_fmac_f64_e32 v[212:213], v[178:179], v[148:149]
	v_fma_f64 v[178:179], s[8:9], v[16:17], v[162:163]
	v_fmac_f64_e32 v[162:163], s[14:15], v[16:17]
	v_fmac_f64_e32 v[178:179], s[16:17], v[14:15]
	v_fmac_f64_e32 v[162:163], s[0:1], v[14:15]
	v_add_f64 v[14:15], v[156:157], v[188:189]
	v_add_f64 v[14:15], v[14:15], v[190:191]
	v_add_f64 v[14:15], v[14:15], v[192:193]
	v_add_f64 v[18:19], v[198:199], -v[196:197]
	v_add_f64 v[20:21], v[200:201], -v[202:203]
	v_add_f64 v[196:197], v[14:15], v[194:195]
	v_add_f64 v[14:15], v[190:191], v[192:193]
	v_add_f64 v[18:19], v[18:19], v[20:21]
	v_fma_f64 v[200:201], -0.5, v[14:15], v[156:157]
	v_add_f64 v[14:15], v[180:181], -v[186:187]
	v_fmac_f64_e32 v[178:179], s[12:13], v[18:19]
	v_fmac_f64_e32 v[162:163], s[12:13], v[18:19]
	v_fma_f64 v[204:205], s[8:9], v[14:15], v[200:201]
	v_add_f64 v[16:17], v[182:183], -v[184:185]
	v_add_f64 v[18:19], v[188:189], -v[190:191]
	v_add_f64 v[20:21], v[194:195], -v[192:193]
	v_fmac_f64_e32 v[200:201], s[14:15], v[14:15]
	v_fmac_f64_e32 v[204:205], s[0:1], v[16:17]
	v_add_f64 v[18:19], v[18:19], v[20:21]
	v_fmac_f64_e32 v[200:201], s[16:17], v[16:17]
	v_fmac_f64_e32 v[204:205], s[12:13], v[18:19]
	v_fmac_f64_e32 v[200:201], s[12:13], v[18:19]
	v_add_f64 v[18:19], v[188:189], v[194:195]
	v_fmac_f64_e32 v[156:157], -0.5, v[18:19]
	v_fma_f64 v[208:209], s[14:15], v[16:17], v[156:157]
	v_fmac_f64_e32 v[156:157], s[8:9], v[16:17]
	v_fmac_f64_e32 v[208:209], s[0:1], v[14:15]
	v_fmac_f64_e32 v[156:157], s[16:17], v[14:15]
	v_add_f64 v[14:15], v[158:159], v[180:181]
	v_add_f64 v[14:15], v[14:15], v[182:183]
	v_add_f64 v[14:15], v[14:15], v[184:185]
	v_add_f64 v[18:19], v[190:191], -v[188:189]
	v_add_f64 v[20:21], v[192:193], -v[194:195]
	v_add_f64 v[198:199], v[14:15], v[186:187]
	v_add_f64 v[14:15], v[182:183], v[184:185]
	v_add_f64 v[18:19], v[18:19], v[20:21]
	v_fma_f64 v[202:203], -0.5, v[14:15], v[158:159]
	v_add_f64 v[14:15], v[188:189], -v[194:195]
	v_fmac_f64_e32 v[208:209], s[12:13], v[18:19]
	v_fmac_f64_e32 v[156:157], s[12:13], v[18:19]
	v_fma_f64 v[206:207], s[14:15], v[14:15], v[202:203]
	v_add_f64 v[16:17], v[190:191], -v[192:193]
	v_add_f64 v[18:19], v[180:181], -v[182:183]
	v_add_f64 v[20:21], v[186:187], -v[184:185]
	v_fmac_f64_e32 v[202:203], s[8:9], v[14:15]
	v_fmac_f64_e32 v[206:207], s[16:17], v[16:17]
	v_add_f64 v[18:19], v[18:19], v[20:21]
	v_fmac_f64_e32 v[202:203], s[0:1], v[16:17]
	v_fmac_f64_e32 v[206:207], s[12:13], v[18:19]
	v_fmac_f64_e32 v[202:203], s[12:13], v[18:19]
	v_add_f64 v[18:19], v[180:181], v[186:187]
	v_fmac_f64_e32 v[158:159], -0.5, v[18:19]
	;; [unrolled: 28-line block ×4, first 2 shown]
	v_fma_f64 v[194:195], s[8:9], v[14:15], v[154:155]
	v_add_f64 v[16:17], v[214:215], -v[212:213]
	v_add_f64 v[18:19], v[216:217], -v[218:219]
	v_fmac_f64_e32 v[154:155], s[14:15], v[14:15]
	v_fmac_f64_e32 v[194:195], s[16:17], v[8:9]
	v_add_f64 v[16:17], v[16:17], v[18:19]
	v_fmac_f64_e32 v[154:155], s[0:1], v[8:9]
	v_sub_co_u32_e64 v8, s[0:1], v228, v10
	v_fmac_f64_e32 v[194:195], s[12:13], v[16:17]
	v_fmac_f64_e32 v[154:155], s[12:13], v[16:17]
	v_subbrev_co_u32_e64 v9, s[0:1], 0, v229, s[0:1]
	s_mov_b64 s[8:9], 0x1080
	s_movk_i32 s12, 0x1000
	v_lshl_add_u64 v[14:15], v[8:9], 0, s[8:9]
	v_add_co_u32_e64 v8, s[0:1], s12, v8
	ds_write_b128 v0, v[168:171]
	ds_write_b128 v0, v[172:175] offset:880
	ds_write_b128 v0, v[176:179] offset:1760
	;; [unrolled: 1-line block ×9, first 2 shown]
	v_addc_co_u32_e64 v9, s[0:1], 0, v9, s[0:1]
	ds_write_b128 v1, v[180:183] offset:8800
	ds_write_b128 v1, v[188:191] offset:9680
	;; [unrolled: 1-line block ×5, first 2 shown]
	s_waitcnt lgkmcnt(0)
	; wave barrier
	s_waitcnt lgkmcnt(0)
	ds_read_b128 v[216:219], v0
	ds_read_b128 v[160:163], v0 offset:4400
	ds_read_b128 v[164:167], v0 offset:8800
	;; [unrolled: 1-line block ×14, first 2 shown]
	global_load_dwordx4 v[152:155], v[8:9], off offset:128
	global_load_dwordx4 v[156:159], v[14:15], off offset:16
	s_waitcnt vmcnt(1) lgkmcnt(13)
	v_mul_f64 v[8:9], v[162:163], v[154:155]
	v_fma_f64 v[228:229], v[160:161], v[152:153], -v[8:9]
	s_waitcnt vmcnt(0) lgkmcnt(12)
	v_mul_f64 v[8:9], v[166:167], v[158:159]
	v_fma_f64 v[232:233], v[164:165], v[156:157], -v[8:9]
	v_lshl_add_u64 v[8:9], s[2:3], 0, v[224:225]
	v_lshl_add_u64 v[14:15], v[8:9], 0, s[8:9]
	v_add_co_u32_e64 v8, s[0:1], s12, v8
	v_mul_f64 v[230:231], v[160:161], v[154:155]
	v_mul_f64 v[234:235], v[164:165], v[158:159]
	v_addc_co_u32_e64 v9, s[0:1], 0, v9, s[0:1]
	v_fmac_f64_e32 v[230:231], v[162:163], v[152:153]
	v_fmac_f64_e32 v[234:235], v[166:167], v[156:157]
	global_load_dwordx4 v[160:163], v[8:9], off offset:128
	global_load_dwordx4 v[164:167], v[14:15], off offset:16
	v_lshlrev_b32_e32 v224, 5, v226
	v_add_f64 v[16:17], v[230:231], v[234:235]
	v_add_f64 v[26:27], v[228:229], -v[232:233]
	s_waitcnt vmcnt(1) lgkmcnt(10)
	v_mul_f64 v[8:9], v[174:175], v[162:163]
	v_fma_f64 v[220:221], v[172:173], v[160:161], -v[8:9]
	s_waitcnt vmcnt(0) lgkmcnt(9)
	v_mul_f64 v[8:9], v[170:171], v[166:167]
	v_fma_f64 v[238:239], v[168:169], v[164:165], -v[8:9]
	v_lshl_add_u64 v[8:9], s[2:3], 0, v[224:225]
	v_lshl_add_u64 v[14:15], v[8:9], 0, s[8:9]
	v_add_co_u32_e64 v8, s[0:1], s12, v8
	v_mul_f64 v[236:237], v[172:173], v[162:163]
	v_mul_f64 v[240:241], v[168:169], v[166:167]
	v_addc_co_u32_e64 v9, s[0:1], 0, v9, s[0:1]
	v_fmac_f64_e32 v[236:237], v[174:175], v[160:161]
	v_fmac_f64_e32 v[240:241], v[170:171], v[164:165]
	global_load_dwordx4 v[168:171], v[8:9], off offset:128
	global_load_dwordx4 v[172:175], v[14:15], off offset:16
	v_add_u32_e32 v224, 0x14a0, v10
	s_waitcnt vmcnt(1) lgkmcnt(7)
	v_mul_f64 v[8:9], v[182:183], v[170:171]
	v_fma_f64 v[226:227], v[180:181], v[168:169], -v[8:9]
	s_waitcnt vmcnt(0) lgkmcnt(6)
	v_mul_f64 v[8:9], v[178:179], v[174:175]
	v_fma_f64 v[244:245], v[176:177], v[172:173], -v[8:9]
	v_lshl_add_u64 v[8:9], s[2:3], 0, v[224:225]
	v_lshl_add_u64 v[14:15], v[8:9], 0, s[8:9]
	v_add_co_u32_e64 v8, s[0:1], s12, v8
	v_mul_f64 v[242:243], v[180:181], v[170:171]
	v_mul_f64 v[246:247], v[176:177], v[174:175]
	v_addc_co_u32_e64 v9, s[0:1], 0, v9, s[0:1]
	v_fmac_f64_e32 v[242:243], v[182:183], v[168:169]
	v_fmac_f64_e32 v[246:247], v[178:179], v[172:173]
	global_load_dwordx4 v[176:179], v[8:9], off offset:128
	global_load_dwordx4 v[180:183], v[14:15], off offset:16
	v_add_u32_e32 v224, 0x1b80, v10
	s_waitcnt vmcnt(1) lgkmcnt(4)
	v_mul_f64 v[8:9], v[190:191], v[178:179]
	v_fma_f64 v[248:249], v[188:189], v[176:177], -v[8:9]
	s_waitcnt vmcnt(0) lgkmcnt(3)
	v_mul_f64 v[8:9], v[186:187], v[182:183]
	v_fma_f64 v[252:253], v[184:185], v[180:181], -v[8:9]
	v_lshl_add_u64 v[8:9], s[2:3], 0, v[224:225]
	v_lshl_add_u64 v[10:11], v[8:9], 0, s[8:9]
	v_add_co_u32_e64 v8, s[0:1], s12, v8
	v_mul_f64 v[250:251], v[188:189], v[178:179]
	v_mul_f64 v[254:255], v[184:185], v[182:183]
	v_addc_co_u32_e64 v9, s[0:1], 0, v9, s[0:1]
	v_fmac_f64_e32 v[250:251], v[190:191], v[176:177]
	v_fmac_f64_e32 v[254:255], v[186:187], v[180:181]
	global_load_dwordx4 v[184:187], v[8:9], off offset:128
	global_load_dwordx4 v[188:191], v[10:11], off offset:16
	v_add_f64 v[10:11], v[228:229], v[232:233]
	s_mov_b32 s0, 0xe8584caa
	s_mov_b32 s1, 0x3febb67a
	s_mov_b32 s3, 0xbfebb67a
	s_mov_b32 s2, s0
	s_movk_i32 s8, 0x3000
	s_waitcnt vmcnt(1) lgkmcnt(1)
	v_mul_f64 v[8:9], v[206:207], v[186:187]
	v_fma_f64 v[18:19], v[204:205], v[184:185], -v[8:9]
	s_waitcnt vmcnt(0) lgkmcnt(0)
	v_mul_f64 v[8:9], v[202:203], v[190:191]
	v_fma_f64 v[22:23], v[200:201], v[188:189], -v[8:9]
	v_add_f64 v[8:9], v[216:217], v[228:229]
	v_fmac_f64_e32 v[216:217], -0.5, v[10:11]
	v_add_f64 v[10:11], v[230:231], -v[234:235]
	v_fma_f64 v[14:15], s[0:1], v[10:11], v[216:217]
	v_fmac_f64_e32 v[216:217], s[2:3], v[10:11]
	v_add_f64 v[10:11], v[218:219], v[230:231]
	v_fmac_f64_e32 v[218:219], -0.5, v[16:17]
	v_fma_f64 v[16:17], s[2:3], v[26:27], v[218:219]
	v_fmac_f64_e32 v[218:219], s[0:1], v[26:27]
	v_add_f64 v[26:27], v[212:213], v[220:221]
	v_add_f64 v[228:229], v[26:27], v[238:239]
	;; [unrolled: 1-line block ×3, first 2 shown]
	v_fmac_f64_e32 v[212:213], -0.5, v[26:27]
	v_add_f64 v[26:27], v[236:237], -v[240:241]
	v_add_f64 v[8:9], v[8:9], v[232:233]
	v_fma_f64 v[232:233], s[0:1], v[26:27], v[212:213]
	v_fmac_f64_e32 v[212:213], s[2:3], v[26:27]
	v_add_f64 v[26:27], v[214:215], v[236:237]
	v_add_f64 v[230:231], v[26:27], v[240:241]
	;; [unrolled: 1-line block ×3, first 2 shown]
	v_fmac_f64_e32 v[214:215], -0.5, v[26:27]
	v_add_f64 v[26:27], v[220:221], -v[238:239]
	v_add_f64 v[10:11], v[10:11], v[234:235]
	v_fma_f64 v[234:235], s[2:3], v[26:27], v[214:215]
	v_fmac_f64_e32 v[214:215], s[0:1], v[26:27]
	v_add_f64 v[26:27], v[208:209], v[226:227]
	v_add_f64 v[236:237], v[26:27], v[244:245]
	v_add_f64 v[26:27], v[226:227], v[244:245]
	v_fmac_f64_e32 v[208:209], -0.5, v[26:27]
	v_add_f64 v[26:27], v[242:243], -v[246:247]
	v_fma_f64 v[224:225], s[0:1], v[26:27], v[208:209]
	v_fmac_f64_e32 v[208:209], s[2:3], v[26:27]
	v_add_f64 v[26:27], v[210:211], v[242:243]
	v_add_f64 v[238:239], v[26:27], v[246:247]
	v_add_f64 v[26:27], v[242:243], v[246:247]
	v_fmac_f64_e32 v[210:211], -0.5, v[26:27]
	v_add_f64 v[26:27], v[226:227], -v[244:245]
	;; [unrolled: 7-line block ×4, first 2 shown]
	v_mul_f64 v[20:21], v[204:205], v[186:187]
	v_mul_f64 v[24:25], v[200:201], v[190:191]
	v_fma_f64 v[246:247], s[2:3], v[26:27], v[194:195]
	v_fmac_f64_e32 v[194:195], s[0:1], v[26:27]
	v_add_f64 v[26:27], v[196:197], v[18:19]
	v_fmac_f64_e32 v[20:21], v[206:207], v[184:185]
	v_fmac_f64_e32 v[24:25], v[202:203], v[188:189]
	v_add_f64 v[200:201], v[26:27], v[22:23]
	v_add_f64 v[26:27], v[18:19], v[22:23]
	v_fmac_f64_e32 v[196:197], -0.5, v[26:27]
	v_add_f64 v[26:27], v[20:21], -v[24:25]
	v_fma_f64 v[204:205], s[0:1], v[26:27], v[196:197]
	v_fmac_f64_e32 v[196:197], s[2:3], v[26:27]
	v_add_f64 v[26:27], v[198:199], v[20:21]
	v_add_f64 v[20:21], v[20:21], v[24:25]
	v_fmac_f64_e32 v[198:199], -0.5, v[20:21]
	v_add_f64 v[18:19], v[18:19], -v[22:23]
	v_fma_f64 v[206:207], s[2:3], v[18:19], v[198:199]
	v_fmac_f64_e32 v[198:199], s[0:1], v[18:19]
	s_mov_b64 s[0:1], 0x3390
	v_add_f64 v[202:203], v[26:27], v[24:25]
	ds_write_b128 v0, v[8:11]
	ds_write_b128 v0, v[14:17] offset:4400
	ds_write_b128 v0, v[216:219] offset:8800
	;; [unrolled: 1-line block ×14, first 2 shown]
	v_lshl_add_u64 v[212:213], v[222:223], 0, s[0:1]
	v_add_co_u32_e64 v14, s[0:1], s8, v222
	s_waitcnt lgkmcnt(0)
	s_nop 0
	v_addc_co_u32_e64 v15, s[0:1], 0, v223, s[0:1]
	; wave barrier
	global_load_dwordx4 v[14:17], v[14:15], off offset:912
	ds_read_b128 v[8:11], v0
	s_movk_i32 s0, 0x4000
	s_waitcnt vmcnt(0) lgkmcnt(0)
	v_mul_f64 v[18:19], v[10:11], v[16:17]
	v_mul_f64 v[210:211], v[8:9], v[16:17]
	v_fma_f64 v[208:209], v[8:9], v[14:15], -v[18:19]
	v_fmac_f64_e32 v[210:211], v[10:11], v[14:15]
	global_load_dwordx4 v[14:17], v[212:213], off offset:1200
	ds_read_b128 v[8:11], v0 offset:1200
	ds_write_b128 v0, v[208:211]
	s_waitcnt vmcnt(0) lgkmcnt(1)
	v_mul_f64 v[18:19], v[10:11], v[16:17]
	v_mul_f64 v[210:211], v[8:9], v[16:17]
	v_fma_f64 v[208:209], v[8:9], v[14:15], -v[18:19]
	v_fmac_f64_e32 v[210:211], v[10:11], v[14:15]
	global_load_dwordx4 v[14:17], v[212:213], off offset:2400
	ds_read_b128 v[8:11], v0 offset:2400
	ds_write_b128 v0, v[208:211] offset:1200
	s_waitcnt vmcnt(0) lgkmcnt(1)
	v_mul_f64 v[18:19], v[10:11], v[16:17]
	v_mul_f64 v[210:211], v[8:9], v[16:17]
	v_fma_f64 v[208:209], v[8:9], v[14:15], -v[18:19]
	v_fmac_f64_e32 v[210:211], v[10:11], v[14:15]
	global_load_dwordx4 v[14:17], v[212:213], off offset:3600
	ds_read_b128 v[8:11], v0 offset:3600
	ds_write_b128 v0, v[208:211] offset:2400
	s_waitcnt vmcnt(0) lgkmcnt(1)
	v_mul_f64 v[18:19], v[10:11], v[16:17]
	v_fma_f64 v[208:209], v[8:9], v[14:15], -v[18:19]
	v_add_co_u32_e64 v18, s[0:1], s0, v222
	v_mul_f64 v[210:211], v[8:9], v[16:17]
	s_nop 0
	v_addc_co_u32_e64 v19, s[0:1], 0, v223, s[0:1]
	v_fmac_f64_e32 v[210:211], v[10:11], v[14:15]
	global_load_dwordx4 v[14:17], v[18:19], off offset:1616
	ds_read_b128 v[8:11], v0 offset:4800
	ds_write_b128 v0, v[208:211] offset:3600
	s_movk_i32 s0, 0x5000
	s_waitcnt vmcnt(0) lgkmcnt(1)
	v_mul_f64 v[20:21], v[10:11], v[16:17]
	v_mul_f64 v[210:211], v[8:9], v[16:17]
	v_fma_f64 v[208:209], v[8:9], v[14:15], -v[20:21]
	v_fmac_f64_e32 v[210:211], v[10:11], v[14:15]
	global_load_dwordx4 v[14:17], v[18:19], off offset:2816
	ds_read_b128 v[8:11], v0 offset:6000
	ds_write_b128 v0, v[208:211] offset:4800
	s_waitcnt vmcnt(0) lgkmcnt(1)
	v_mul_f64 v[20:21], v[10:11], v[16:17]
	v_mul_f64 v[210:211], v[8:9], v[16:17]
	v_fma_f64 v[208:209], v[8:9], v[14:15], -v[20:21]
	v_fmac_f64_e32 v[210:211], v[10:11], v[14:15]
	global_load_dwordx4 v[14:17], v[18:19], off offset:4016
	ds_read_b128 v[8:11], v0 offset:7200
	ds_write_b128 v0, v[208:211] offset:6000
	s_waitcnt vmcnt(0) lgkmcnt(1)
	v_mul_f64 v[18:19], v[10:11], v[16:17]
	v_fma_f64 v[208:209], v[8:9], v[14:15], -v[18:19]
	v_add_co_u32_e64 v18, s[0:1], s0, v222
	v_mul_f64 v[210:211], v[8:9], v[16:17]
	s_nop 0
	v_addc_co_u32_e64 v19, s[0:1], 0, v223, s[0:1]
	v_fmac_f64_e32 v[210:211], v[10:11], v[14:15]
	global_load_dwordx4 v[14:17], v[18:19], off offset:1120
	ds_read_b128 v[8:11], v0 offset:8400
	ds_write_b128 v0, v[208:211] offset:7200
	s_movk_i32 s0, 0x6000
	s_waitcnt vmcnt(0) lgkmcnt(1)
	v_mul_f64 v[20:21], v[10:11], v[16:17]
	v_mul_f64 v[210:211], v[8:9], v[16:17]
	v_fma_f64 v[208:209], v[8:9], v[14:15], -v[20:21]
	v_fmac_f64_e32 v[210:211], v[10:11], v[14:15]
	global_load_dwordx4 v[14:17], v[18:19], off offset:2320
	ds_read_b128 v[8:11], v0 offset:9600
	ds_write_b128 v0, v[208:211] offset:8400
	s_waitcnt vmcnt(0) lgkmcnt(1)
	v_mul_f64 v[20:21], v[10:11], v[16:17]
	v_mul_f64 v[210:211], v[8:9], v[16:17]
	v_fma_f64 v[208:209], v[8:9], v[14:15], -v[20:21]
	v_fmac_f64_e32 v[210:211], v[10:11], v[14:15]
	global_load_dwordx4 v[14:17], v[18:19], off offset:3520
	ds_read_b128 v[8:11], v0 offset:10800
	ds_write_b128 v0, v[208:211] offset:9600
	s_waitcnt vmcnt(0) lgkmcnt(1)
	v_mul_f64 v[18:19], v[10:11], v[16:17]
	v_mul_f64 v[210:211], v[8:9], v[16:17]
	v_fma_f64 v[208:209], v[8:9], v[14:15], -v[18:19]
	v_fmac_f64_e32 v[210:211], v[10:11], v[14:15]
	v_add_co_u32_e64 v14, s[0:1], s0, v222
	ds_read_b128 v[8:11], v0 offset:12000
	s_nop 0
	v_addc_co_u32_e64 v15, s[0:1], 0, v223, s[0:1]
	global_load_dwordx4 v[14:17], v[14:15], off offset:624
	ds_write_b128 v0, v[208:211] offset:10800
	s_waitcnt vmcnt(0) lgkmcnt(1)
	v_mul_f64 v[18:19], v[10:11], v[16:17]
	v_mul_f64 v[210:211], v[8:9], v[16:17]
	v_fma_f64 v[208:209], v[8:9], v[14:15], -v[18:19]
	v_fmac_f64_e32 v[210:211], v[10:11], v[14:15]
	ds_write_b128 v0, v[208:211] offset:12000
	s_and_saveexec_b64 s[2:3], vcc
	s_cbranch_execz .LBB0_9
; %bb.8:
	global_load_dwordx4 v[14:17], v[212:213], off offset:880
	ds_read_b128 v[8:11], v0 offset:880
	s_waitcnt vmcnt(0) lgkmcnt(0)
	v_mul_f64 v[18:19], v[10:11], v[16:17]
	v_mul_f64 v[210:211], v[8:9], v[16:17]
	v_fma_f64 v[208:209], v[8:9], v[14:15], -v[18:19]
	v_fmac_f64_e32 v[210:211], v[10:11], v[14:15]
	global_load_dwordx4 v[14:17], v[212:213], off offset:2080
	ds_read_b128 v[8:11], v0 offset:2080
	ds_write_b128 v0, v[208:211] offset:880
	s_waitcnt vmcnt(0) lgkmcnt(1)
	v_mul_f64 v[18:19], v[10:11], v[16:17]
	v_mul_f64 v[210:211], v[8:9], v[16:17]
	v_fma_f64 v[208:209], v[8:9], v[14:15], -v[18:19]
	v_fmac_f64_e32 v[210:211], v[10:11], v[14:15]
	global_load_dwordx4 v[14:17], v[212:213], off offset:3280
	ds_read_b128 v[8:11], v0 offset:3280
	ds_write_b128 v0, v[208:211] offset:2080
	s_waitcnt vmcnt(0) lgkmcnt(1)
	v_mul_f64 v[18:19], v[10:11], v[16:17]
	v_fma_f64 v[208:209], v[8:9], v[14:15], -v[18:19]
	v_add_co_u32_e64 v18, s[0:1], s12, v212
	v_mul_f64 v[210:211], v[8:9], v[16:17]
	s_nop 0
	v_addc_co_u32_e64 v19, s[0:1], 0, v213, s[0:1]
	v_fmac_f64_e32 v[210:211], v[10:11], v[14:15]
	global_load_dwordx4 v[14:17], v[18:19], off offset:384
	ds_read_b128 v[8:11], v0 offset:4480
	ds_write_b128 v0, v[208:211] offset:3280
	s_movk_i32 s0, 0x2000
	s_waitcnt vmcnt(0) lgkmcnt(1)
	v_mul_f64 v[20:21], v[10:11], v[16:17]
	v_mul_f64 v[210:211], v[8:9], v[16:17]
	v_fma_f64 v[208:209], v[8:9], v[14:15], -v[20:21]
	v_fmac_f64_e32 v[210:211], v[10:11], v[14:15]
	global_load_dwordx4 v[14:17], v[18:19], off offset:1584
	ds_read_b128 v[8:11], v0 offset:5680
	ds_write_b128 v0, v[208:211] offset:4480
	s_waitcnt vmcnt(0) lgkmcnt(1)
	v_mul_f64 v[20:21], v[10:11], v[16:17]
	v_mul_f64 v[210:211], v[8:9], v[16:17]
	v_fma_f64 v[208:209], v[8:9], v[14:15], -v[20:21]
	v_fmac_f64_e32 v[210:211], v[10:11], v[14:15]
	global_load_dwordx4 v[14:17], v[18:19], off offset:2784
	ds_read_b128 v[8:11], v0 offset:6880
	ds_write_b128 v0, v[208:211] offset:5680
	;; [unrolled: 8-line block ×3, first 2 shown]
	s_waitcnt vmcnt(0) lgkmcnt(1)
	v_mul_f64 v[18:19], v[10:11], v[16:17]
	v_fma_f64 v[208:209], v[8:9], v[14:15], -v[18:19]
	v_add_co_u32_e64 v18, s[0:1], s0, v212
	v_mul_f64 v[210:211], v[8:9], v[16:17]
	s_nop 0
	v_addc_co_u32_e64 v19, s[0:1], 0, v213, s[0:1]
	v_fmac_f64_e32 v[210:211], v[10:11], v[14:15]
	global_load_dwordx4 v[14:17], v[18:19], off offset:1088
	ds_read_b128 v[8:11], v0 offset:9280
	ds_write_b128 v0, v[208:211] offset:8080
	s_waitcnt vmcnt(0) lgkmcnt(1)
	v_mul_f64 v[20:21], v[10:11], v[16:17]
	v_mul_f64 v[210:211], v[8:9], v[16:17]
	v_fma_f64 v[208:209], v[8:9], v[14:15], -v[20:21]
	v_fmac_f64_e32 v[210:211], v[10:11], v[14:15]
	global_load_dwordx4 v[14:17], v[18:19], off offset:2288
	ds_read_b128 v[8:11], v0 offset:10480
	ds_write_b128 v0, v[208:211] offset:9280
	s_waitcnt vmcnt(0) lgkmcnt(1)
	v_mul_f64 v[20:21], v[10:11], v[16:17]
	v_mul_f64 v[210:211], v[8:9], v[16:17]
	v_fma_f64 v[208:209], v[8:9], v[14:15], -v[20:21]
	v_fmac_f64_e32 v[210:211], v[10:11], v[14:15]
	global_load_dwordx4 v[14:17], v[18:19], off offset:3488
	ds_read_b128 v[8:11], v0 offset:11680
	ds_write_b128 v0, v[208:211] offset:10480
	s_waitcnt vmcnt(0) lgkmcnt(1)
	v_mul_f64 v[18:19], v[10:11], v[16:17]
	v_fma_f64 v[208:209], v[8:9], v[14:15], -v[18:19]
	v_mul_f64 v[210:211], v[8:9], v[16:17]
	v_add_co_u32_e64 v8, s[0:1], s8, v212
	v_fmac_f64_e32 v[210:211], v[10:11], v[14:15]
	s_nop 0
	v_addc_co_u32_e64 v9, s[0:1], 0, v213, s[0:1]
	global_load_dwordx4 v[8:11], v[8:9], off offset:592
	ds_write_b128 v0, v[208:211] offset:11680
	ds_read_b128 v[208:211], v0 offset:12880
	s_waitcnt vmcnt(0) lgkmcnt(0)
	v_mul_f64 v[14:15], v[210:211], v[10:11]
	v_mul_f64 v[16:17], v[208:209], v[10:11]
	v_fma_f64 v[14:15], v[208:209], v[8:9], -v[14:15]
	v_fmac_f64_e32 v[16:17], v[210:211], v[8:9]
	ds_write_b128 v0, v[14:17] offset:12880
.LBB0_9:
	s_or_b64 exec, exec, s[2:3]
	s_waitcnt lgkmcnt(0)
	; wave barrier
	s_waitcnt lgkmcnt(0)
	ds_read_b128 v[236:239], v0
	ds_read_b128 v[248:251], v0 offset:1200
	ds_read_b128 v[232:235], v0 offset:2400
	;; [unrolled: 1-line block ×10, first 2 shown]
	s_and_saveexec_b64 s[0:1], vcc
	s_cbranch_execz .LBB0_11
; %bb.10:
	ds_read_b128 v[192:195], v0 offset:880
	ds_read_b128 v[200:203], v0 offset:2080
	;; [unrolled: 1-line block ×11, first 2 shown]
.LBB0_11:
	s_or_b64 exec, exec, s[0:1]
	s_waitcnt lgkmcnt(9)
	v_add_f64 v[10:11], v[238:239], v[250:251]
	s_waitcnt lgkmcnt(8)
	v_add_f64 v[10:11], v[10:11], v[234:235]
	v_add_f64 v[8:9], v[236:237], v[248:249]
	s_waitcnt lgkmcnt(7)
	v_add_f64 v[10:11], v[10:11], v[226:227]
	;; [unrolled: 3-line block ×8, first 2 shown]
	s_mov_b32 s14, 0x640f44db
	v_add_f64 v[8:9], v[8:9], v[228:229]
	s_waitcnt lgkmcnt(0)
	v_add_f64 v[246:247], v[10:11], v[254:255]
	v_add_f64 v[10:11], v[250:251], v[254:255]
	s_mov_b32 s16, 0x43842ef
	s_mov_b32 s15, 0xbfc2375f
	v_add_f64 v[8:9], v[8:9], v[240:241]
	v_add_f64 v[14:15], v[248:249], -v[252:253]
	v_add_f64 v[16:17], v[250:251], -v[254:255]
	s_mov_b32 s2, 0xf8bb580b
	s_mov_b32 s12, 0x8eee2c13
	;; [unrolled: 1-line block ×3, first 2 shown]
	v_mul_f64 v[254:255], v[10:11], s[14:15]
	s_mov_b32 s29, 0x3fefac9e
	s_mov_b32 s28, s16
	;; [unrolled: 1-line block ×3, first 2 shown]
	v_add_f64 v[244:245], v[8:9], v[252:253]
	v_add_f64 v[8:9], v[248:249], v[252:253]
	s_mov_b32 s3, 0xbfe14ced
	s_mov_b32 s0, 0x8764f0ba
	s_mov_b32 s13, 0xbfed1bb4
	s_mov_b32 s8, 0xd9c712b6
	v_mul_f64 v[250:251], v[16:17], s[16:17]
	v_fma_f64 v[32:33], s[28:29], v[14:15], v[254:255]
	v_fmac_f64_e32 v[254:255], s[16:17], v[14:15]
	s_mov_b32 s21, 0xbfe82f19
	s_mov_b32 s18, 0x7f775887
	;; [unrolled: 1-line block ×3, first 2 shown]
	v_mul_f64 v[18:19], v[16:17], s[2:3]
	s_mov_b32 s1, 0x3feaeb8c
	v_mul_f64 v[26:27], v[16:17], s[12:13]
	s_mov_b32 s9, 0x3fda9628
	v_fma_f64 v[252:253], s[14:15], v[8:9], v[250:251]
	v_fma_f64 v[34:35], v[8:9], s[14:15], -v[250:251]
	v_add_f64 v[250:251], v[238:239], v[254:255]
	v_mul_f64 v[254:255], v[16:17], s[20:21]
	s_mov_b32 s19, 0xbfe4f49e
	v_mul_f64 v[16:17], v[16:17], s[26:27]
	s_mov_b32 s23, 0xbfeeb42a
	v_fma_f64 v[20:21], s[0:1], v[8:9], v[18:19]
	v_mul_f64 v[22:23], v[10:11], s[0:1]
	s_mov_b32 s25, 0x3fe14ced
	s_mov_b32 s24, s2
	v_fma_f64 v[18:19], v[8:9], s[0:1], -v[18:19]
	v_fma_f64 v[28:29], s[8:9], v[8:9], v[26:27]
	v_mul_f64 v[30:31], v[10:11], s[8:9]
	s_mov_b32 s31, 0x3fed1bb4
	s_mov_b32 s30, s12
	v_fma_f64 v[26:27], v[8:9], s[8:9], -v[26:27]
	;; [unrolled: 5-line block ×4, first 2 shown]
	v_add_f64 v[16:17], v[234:235], v[242:243]
	v_add_f64 v[234:235], v[234:235], -v[242:243]
	v_add_f64 v[20:21], v[236:237], v[20:21]
	v_fma_f64 v[24:25], s[24:25], v[14:15], v[22:23]
	v_add_f64 v[18:19], v[236:237], v[18:19]
	v_fmac_f64_e32 v[22:23], s[2:3], v[14:15]
	v_add_f64 v[28:29], v[236:237], v[28:29]
	v_fma_f64 v[248:249], s[30:31], v[14:15], v[30:31]
	v_add_f64 v[26:27], v[236:237], v[26:27]
	v_fmac_f64_e32 v[30:31], s[12:13], v[14:15]
	v_add_f64 v[252:253], v[236:237], v[252:253]
	v_add_f64 v[34:35], v[236:237], v[34:35]
	v_add_f64 v[36:37], v[236:237], v[36:37]
	v_fma_f64 v[40:41], s[36:37], v[14:15], v[38:39]
	v_add_f64 v[42:43], v[236:237], v[42:43]
	v_fmac_f64_e32 v[38:39], s[20:21], v[14:15]
	v_add_f64 v[254:255], v[236:237], v[254:255]
	v_fma_f64 v[12:13], s[34:35], v[14:15], v[10:11]
	v_add_f64 v[8:9], v[236:237], v[8:9]
	v_fmac_f64_e32 v[10:11], s[26:27], v[14:15]
	v_add_f64 v[14:15], v[232:233], v[240:241]
	v_mul_f64 v[236:237], v[234:235], s[12:13]
	v_add_f64 v[24:25], v[238:239], v[24:25]
	v_add_f64 v[22:23], v[238:239], v[22:23]
	;; [unrolled: 1-line block ×9, first 2 shown]
	v_fma_f64 v[238:239], s[8:9], v[14:15], v[236:237]
	v_add_f64 v[232:233], v[232:233], -v[240:241]
	v_add_f64 v[20:21], v[238:239], v[20:21]
	v_mul_f64 v[238:239], v[16:17], s[8:9]
	v_fma_f64 v[236:237], v[14:15], s[8:9], -v[236:237]
	v_fma_f64 v[240:241], s[30:31], v[232:233], v[238:239]
	v_add_f64 v[18:19], v[236:237], v[18:19]
	v_fmac_f64_e32 v[238:239], s[12:13], v[232:233]
	v_mul_f64 v[236:237], v[234:235], s[20:21]
	v_add_f64 v[22:23], v[238:239], v[22:23]
	v_fma_f64 v[238:239], s[18:19], v[14:15], v[236:237]
	v_add_f64 v[28:29], v[238:239], v[28:29]
	v_mul_f64 v[238:239], v[16:17], s[18:19]
	v_fma_f64 v[236:237], v[14:15], s[18:19], -v[236:237]
	v_add_f64 v[24:25], v[240:241], v[24:25]
	v_fma_f64 v[240:241], s[36:37], v[232:233], v[238:239]
	v_add_f64 v[26:27], v[236:237], v[26:27]
	v_fmac_f64_e32 v[238:239], s[20:21], v[232:233]
	v_mul_f64 v[236:237], v[234:235], s[34:35]
	v_mul_f64 v[242:243], v[16:17], s[22:23]
	v_add_f64 v[240:241], v[240:241], v[248:249]
	v_add_f64 v[30:31], v[238:239], v[30:31]
	v_fma_f64 v[238:239], s[22:23], v[14:15], v[236:237]
	v_fma_f64 v[248:249], s[26:27], v[232:233], v[242:243]
	v_fma_f64 v[236:237], v[14:15], s[22:23], -v[236:237]
	v_fmac_f64_e32 v[242:243], s[34:35], v[232:233]
	v_add_f64 v[34:35], v[236:237], v[34:35]
	v_add_f64 v[236:237], v[242:243], v[250:251]
	v_mul_f64 v[242:243], v[234:235], s[28:29]
	v_add_f64 v[32:33], v[248:249], v[32:33]
	v_fma_f64 v[248:249], s[14:15], v[14:15], v[242:243]
	v_add_f64 v[36:37], v[248:249], v[36:37]
	v_mul_f64 v[248:249], v[16:17], s[14:15]
	v_fma_f64 v[250:251], s[16:17], v[232:233], v[248:249]
	v_fmac_f64_e32 v[248:249], s[28:29], v[232:233]
	v_mul_f64 v[16:17], v[16:17], s[0:1]
	v_fma_f64 v[242:243], v[14:15], s[14:15], -v[242:243]
	v_add_f64 v[38:39], v[248:249], v[38:39]
	v_mul_f64 v[234:235], v[234:235], s[24:25]
	v_fma_f64 v[248:249], s[2:3], v[232:233], v[16:17]
	v_fmac_f64_e32 v[16:17], s[24:25], v[232:233]
	v_add_f64 v[42:43], v[242:243], v[42:43]
	v_fma_f64 v[242:243], s[0:1], v[14:15], v[234:235]
	v_fma_f64 v[14:15], v[14:15], s[0:1], -v[234:235]
	v_add_f64 v[10:11], v[16:17], v[10:11]
	v_add_f64 v[16:17], v[226:227], v[230:231]
	v_add_f64 v[226:227], v[226:227], -v[230:231]
	v_add_f64 v[8:9], v[14:15], v[8:9]
	v_add_f64 v[14:15], v[224:225], v[228:229]
	v_add_f64 v[224:225], v[224:225], -v[228:229]
	v_mul_f64 v[228:229], v[226:227], s[16:17]
	v_fma_f64 v[230:231], s[14:15], v[14:15], v[228:229]
	v_add_f64 v[20:21], v[230:231], v[20:21]
	v_mul_f64 v[230:231], v[16:17], s[14:15]
	v_fma_f64 v[228:229], v[14:15], s[14:15], -v[228:229]
	v_fma_f64 v[232:233], s[28:29], v[224:225], v[230:231]
	v_add_f64 v[18:19], v[228:229], v[18:19]
	v_fmac_f64_e32 v[230:231], s[16:17], v[224:225]
	v_mul_f64 v[228:229], v[226:227], s[34:35]
	v_add_f64 v[22:23], v[230:231], v[22:23]
	v_fma_f64 v[230:231], s[22:23], v[14:15], v[228:229]
	v_add_f64 v[28:29], v[230:231], v[28:29]
	v_mul_f64 v[230:231], v[16:17], s[22:23]
	v_fma_f64 v[228:229], v[14:15], s[22:23], -v[228:229]
	v_add_f64 v[24:25], v[232:233], v[24:25]
	v_fma_f64 v[232:233], s[26:27], v[224:225], v[230:231]
	v_add_f64 v[26:27], v[228:229], v[26:27]
	v_fmac_f64_e32 v[230:231], s[34:35], v[224:225]
	v_mul_f64 v[228:229], v[226:227], s[30:31]
	v_add_f64 v[238:239], v[238:239], v[252:253]
	v_add_f64 v[30:31], v[230:231], v[30:31]
	v_fma_f64 v[230:231], s[8:9], v[14:15], v[228:229]
	v_mul_f64 v[234:235], v[16:17], s[8:9]
	v_add_f64 v[230:231], v[230:231], v[238:239]
	v_fma_f64 v[238:239], s[12:13], v[224:225], v[234:235]
	v_fma_f64 v[228:229], v[14:15], s[8:9], -v[228:229]
	v_fmac_f64_e32 v[234:235], s[30:31], v[224:225]
	v_add_f64 v[34:35], v[228:229], v[34:35]
	v_add_f64 v[228:229], v[234:235], v[236:237]
	v_mul_f64 v[234:235], v[226:227], s[2:3]
	v_fma_f64 v[236:237], s[0:1], v[14:15], v[234:235]
	v_add_f64 v[36:37], v[236:237], v[36:37]
	v_mul_f64 v[236:237], v[16:17], s[0:1]
	v_add_f64 v[32:33], v[238:239], v[32:33]
	v_fma_f64 v[238:239], s[24:25], v[224:225], v[236:237]
	v_fmac_f64_e32 v[236:237], s[2:3], v[224:225]
	v_mul_f64 v[16:17], v[16:17], s[18:19]
	v_fma_f64 v[234:235], v[14:15], s[0:1], -v[234:235]
	v_add_f64 v[38:39], v[236:237], v[38:39]
	v_mul_f64 v[226:227], v[226:227], s[20:21]
	v_fma_f64 v[236:237], s[36:37], v[224:225], v[16:17]
	v_fmac_f64_e32 v[16:17], s[20:21], v[224:225]
	v_add_f64 v[42:43], v[234:235], v[42:43]
	v_fma_f64 v[234:235], s[18:19], v[14:15], v[226:227]
	v_fma_f64 v[14:15], v[14:15], s[18:19], -v[226:227]
	v_add_f64 v[10:11], v[16:17], v[10:11]
	v_add_f64 v[16:17], v[218:219], v[222:223]
	v_add_f64 v[218:219], v[218:219], -v[222:223]
	v_add_f64 v[8:9], v[14:15], v[8:9]
	v_add_f64 v[14:15], v[216:217], v[220:221]
	v_add_f64 v[216:217], v[216:217], -v[220:221]
	v_mul_f64 v[220:221], v[218:219], s[20:21]
	v_fma_f64 v[222:223], s[18:19], v[14:15], v[220:221]
	v_add_f64 v[20:21], v[222:223], v[20:21]
	v_mul_f64 v[222:223], v[16:17], s[18:19]
	v_fma_f64 v[220:221], v[14:15], s[18:19], -v[220:221]
	v_fma_f64 v[224:225], s[36:37], v[216:217], v[222:223]
	v_add_f64 v[18:19], v[220:221], v[18:19]
	v_fmac_f64_e32 v[222:223], s[20:21], v[216:217]
	v_mul_f64 v[220:221], v[218:219], s[28:29]
	v_add_f64 v[22:23], v[222:223], v[22:23]
	v_fma_f64 v[222:223], s[14:15], v[14:15], v[220:221]
	v_add_f64 v[28:29], v[222:223], v[28:29]
	v_mul_f64 v[222:223], v[16:17], s[14:15]
	v_fma_f64 v[220:221], v[14:15], s[14:15], -v[220:221]
	v_add_f64 v[24:25], v[224:225], v[24:25]
	v_fma_f64 v[224:225], s[16:17], v[216:217], v[222:223]
	v_add_f64 v[26:27], v[220:221], v[26:27]
	v_fmac_f64_e32 v[222:223], s[28:29], v[216:217]
	v_mul_f64 v[220:221], v[218:219], s[2:3]
	v_add_f64 v[30:31], v[222:223], v[30:31]
	v_fma_f64 v[222:223], s[0:1], v[14:15], v[220:221]
	v_mul_f64 v[226:227], v[16:17], s[0:1]
	v_fma_f64 v[220:221], v[14:15], s[0:1], -v[220:221]
	v_add_f64 v[222:223], v[222:223], v[230:231]
	v_fma_f64 v[230:231], s[24:25], v[216:217], v[226:227]
	v_add_f64 v[34:35], v[220:221], v[34:35]
	v_fmac_f64_e32 v[226:227], s[2:3], v[216:217]
	v_mul_f64 v[220:221], v[218:219], s[26:27]
	v_add_f64 v[226:227], v[226:227], v[228:229]
	v_fma_f64 v[228:229], s[22:23], v[14:15], v[220:221]
	v_fma_f64 v[220:221], v[14:15], s[22:23], -v[220:221]
	v_mul_f64 v[218:219], v[218:219], s[30:31]
	v_add_f64 v[12:13], v[248:249], v[12:13]
	v_add_f64 v[42:43], v[220:221], v[42:43]
	v_fma_f64 v[220:221], s[8:9], v[14:15], v[218:219]
	v_fma_f64 v[14:15], v[14:15], s[8:9], -v[218:219]
	v_add_f64 v[248:249], v[210:211], -v[214:215]
	v_add_f64 v[242:243], v[242:243], v[254:255]
	v_add_f64 v[232:233], v[232:233], v[240:241]
	;; [unrolled: 1-line block ×5, first 2 shown]
	v_mul_f64 v[14:15], v[248:249], s[26:27]
	v_add_f64 v[234:235], v[234:235], v[242:243]
	v_add_f64 v[36:37], v[228:229], v[36:37]
	v_mul_f64 v[228:229], v[16:17], s[22:23]
	v_mul_f64 v[16:17], v[16:17], s[8:9]
	v_fma_f64 v[8:9], s[22:23], v[240:241], v[14:15]
	v_fma_f64 v[14:15], v[240:241], s[22:23], -v[14:15]
	v_add_f64 v[40:41], v[250:251], v[40:41]
	v_add_f64 v[224:225], v[224:225], v[232:233]
	;; [unrolled: 1-line block ×3, first 2 shown]
	v_fma_f64 v[220:221], s[12:13], v[216:217], v[16:17]
	v_fmac_f64_e32 v[16:17], s[30:31], v[216:217]
	v_add_f64 v[234:235], v[210:211], v[214:215]
	v_add_f64 v[14:15], v[14:15], v[18:19]
	v_mul_f64 v[18:19], v[248:249], s[24:25]
	v_add_f64 v[40:41], v[238:239], v[40:41]
	v_add_f64 v[238:239], v[16:17], v[10:11]
	v_add_f64 v[242:243], v[208:209], -v[212:213]
	v_add_f64 v[8:9], v[8:9], v[20:21]
	v_mul_f64 v[16:17], v[234:235], s[22:23]
	v_fma_f64 v[20:21], s[0:1], v[240:241], v[18:19]
	v_fma_f64 v[10:11], s[34:35], v[242:243], v[16:17]
	v_fmac_f64_e32 v[16:17], s[26:27], v[242:243]
	v_add_f64 v[208:209], v[20:21], v[28:29]
	v_mul_f64 v[20:21], v[234:235], s[0:1]
	v_fma_f64 v[18:19], v[240:241], s[0:1], -v[18:19]
	v_add_f64 v[16:17], v[16:17], v[22:23]
	v_fma_f64 v[22:23], s[2:3], v[242:243], v[20:21]
	v_add_f64 v[212:213], v[18:19], v[26:27]
	v_fmac_f64_e32 v[20:21], s[24:25], v[242:243]
	v_mul_f64 v[18:19], v[248:249], s[20:21]
	v_add_f64 v[214:215], v[20:21], v[30:31]
	v_fma_f64 v[20:21], s[18:19], v[240:241], v[18:19]
	v_add_f64 v[32:33], v[230:231], v[32:33]
	v_fma_f64 v[230:231], s[34:35], v[216:217], v[228:229]
	v_fmac_f64_e32 v[228:229], s[26:27], v[216:217]
	v_add_f64 v[216:217], v[20:21], v[222:223]
	v_mul_f64 v[20:21], v[234:235], s[18:19]
	v_fma_f64 v[18:19], v[240:241], s[18:19], -v[18:19]
	v_add_f64 v[12:13], v[220:221], v[12:13]
	v_add_f64 v[210:211], v[22:23], v[224:225]
	v_fma_f64 v[22:23], s[36:37], v[242:243], v[20:21]
	v_add_f64 v[220:221], v[18:19], v[34:35]
	v_fmac_f64_e32 v[20:21], s[20:21], v[242:243]
	v_mul_f64 v[18:19], v[248:249], s[30:31]
	v_add_f64 v[222:223], v[20:21], v[226:227]
	v_fma_f64 v[20:21], s[8:9], v[240:241], v[18:19]
	v_add_f64 v[224:225], v[20:21], v[36:37]
	v_mul_f64 v[20:21], v[234:235], s[8:9]
	v_fma_f64 v[18:19], v[240:241], s[8:9], -v[18:19]
	v_add_f64 v[38:39], v[228:229], v[38:39]
	v_add_f64 v[218:219], v[22:23], v[32:33]
	v_fma_f64 v[22:23], s[12:13], v[242:243], v[20:21]
	v_add_f64 v[228:229], v[18:19], v[42:43]
	v_fmac_f64_e32 v[20:21], s[30:31], v[242:243]
	v_mul_f64 v[18:19], v[248:249], s[16:17]
	v_add_f64 v[40:41], v[230:231], v[40:41]
	v_add_f64 v[230:231], v[20:21], v[38:39]
	v_fma_f64 v[20:21], s[14:15], v[240:241], v[18:19]
	v_add_f64 v[232:233], v[20:21], v[232:233]
	v_mul_f64 v[20:21], v[234:235], s[14:15]
	v_add_f64 v[226:227], v[22:23], v[40:41]
	v_fma_f64 v[22:23], s[28:29], v[242:243], v[20:21]
	v_add_f64 v[234:235], v[22:23], v[12:13]
	v_fma_f64 v[12:13], v[240:241], s[14:15], -v[18:19]
	v_fmac_f64_e32 v[20:21], s[16:17], v[242:243]
	v_add_f64 v[10:11], v[10:11], v[24:25]
	v_add_f64 v[236:237], v[12:13], v[236:237]
	;; [unrolled: 1-line block ×3, first 2 shown]
	s_waitcnt lgkmcnt(0)
	; wave barrier
	ds_write_b128 v7, v[244:247]
	ds_write_b128 v7, v[8:11] offset:16
	ds_write_b128 v7, v[208:211] offset:32
	;; [unrolled: 1-line block ×10, first 2 shown]
	s_and_saveexec_b64 s[36:37], vcc
	s_cbranch_execz .LBB0_13
; %bb.12:
	v_add_f64 v[252:253], v[200:201], -v[44:45]
	v_accvgpr_write_b32 a52, v76
	v_add_f64 v[250:251], v[204:205], -v[48:49]
	v_mul_f64 v[24:25], v[252:253], s[26:27]
	v_add_f64 v[232:233], v[202:203], v[46:47]
	v_accvgpr_write_b32 a53, v77
	v_accvgpr_write_b32 a54, v78
	;; [unrolled: 1-line block ×3, first 2 shown]
	v_accvgpr_read_b32 v79, a51
	v_add_f64 v[248:249], v[196:197], -v[56:57]
	v_mul_f64 v[20:21], v[250:251], s[24:25]
	v_add_f64 v[230:231], v[206:207], v[50:51]
	v_fma_f64 v[26:27], s[22:23], v[232:233], v[24:25]
	v_accvgpr_read_b32 v77, a49
	v_accvgpr_read_b32 v76, a48
	v_add_f64 v[246:247], v[52:53], -v[60:61]
	v_mul_f64 v[16:17], v[248:249], s[20:21]
	v_add_f64 v[228:229], v[198:199], v[58:59]
	v_fma_f64 v[22:23], s[0:1], v[230:231], v[20:21]
	v_add_f64 v[26:27], v[194:195], v[26:27]
	v_accvgpr_read_b32 v78, a50
	v_add_f64 v[244:245], v[64:65], -v[76:77]
	v_mul_f64 v[14:15], v[246:247], s[30:31]
	v_add_f64 v[226:227], v[54:55], v[62:63]
	v_fma_f64 v[18:19], s[18:19], v[228:229], v[16:17]
	v_add_f64 v[22:23], v[22:23], v[26:27]
	v_mul_f64 v[12:13], v[244:245], s[16:17]
	v_add_f64 v[224:225], v[66:67], v[78:79]
	v_fma_f64 v[10:11], s[8:9], v[226:227], v[14:15]
	v_add_f64 v[18:19], v[18:19], v[22:23]
	v_add_f64 v[40:41], v[202:203], -v[46:47]
	v_fma_f64 v[8:9], s[14:15], v[224:225], v[12:13]
	v_add_f64 v[10:11], v[10:11], v[18:19]
	v_add_f64 v[34:35], v[206:207], -v[50:51]
	v_add_f64 v[242:243], v[200:201], v[44:45]
	v_mul_f64 v[42:43], v[40:41], s[26:27]
	v_add_f64 v[210:211], v[8:9], v[10:11]
	v_add_f64 v[10:11], v[198:199], -v[58:59]
	v_add_f64 v[240:241], v[204:205], v[48:49]
	v_mul_f64 v[36:37], v[34:35], s[24:25]
	v_fma_f64 v[208:209], v[242:243], s[22:23], -v[42:43]
	v_add_f64 v[8:9], v[54:55], -v[62:63]
	v_add_f64 v[238:239], v[196:197], v[56:57]
	v_mul_f64 v[30:31], v[10:11], s[20:21]
	v_fma_f64 v[38:39], v[240:241], s[0:1], -v[36:37]
	v_add_f64 v[208:209], v[192:193], v[208:209]
	v_add_f64 v[254:255], v[66:67], -v[78:79]
	v_add_f64 v[236:237], v[52:53], v[60:61]
	v_mul_f64 v[26:27], v[8:9], s[30:31]
	v_fma_f64 v[32:33], v[238:239], s[18:19], -v[30:31]
	v_add_f64 v[38:39], v[38:39], v[208:209]
	v_add_f64 v[234:235], v[64:65], v[76:77]
	v_mul_f64 v[18:19], v[254:255], s[16:17]
	v_fma_f64 v[28:29], v[236:237], s[8:9], -v[26:27]
	v_add_f64 v[32:33], v[32:33], v[38:39]
	v_fma_f64 v[22:23], v[234:235], s[14:15], -v[18:19]
	v_add_f64 v[28:29], v[28:29], v[32:33]
	v_add_f64 v[208:209], v[22:23], v[28:29]
	v_fma_f64 v[22:23], v[232:233], s[22:23], -v[24:25]
	v_fma_f64 v[20:21], v[230:231], s[0:1], -v[20:21]
	v_add_f64 v[22:23], v[194:195], v[22:23]
	v_fma_f64 v[16:17], v[228:229], s[18:19], -v[16:17]
	v_add_f64 v[20:21], v[20:21], v[22:23]
	;; [unrolled: 2-line block ×4, first 2 shown]
	v_fmac_f64_e32 v[42:43], s[22:23], v[242:243]
	v_add_f64 v[214:215], v[12:13], v[14:15]
	v_fmac_f64_e32 v[36:37], s[0:1], v[240:241]
	v_add_f64 v[12:13], v[192:193], v[42:43]
	;; [unrolled: 2-line block ×3, first 2 shown]
	v_mul_f64 v[28:29], v[252:253], s[20:21]
	v_fmac_f64_e32 v[26:27], s[8:9], v[236:237]
	v_add_f64 v[12:13], v[30:31], v[12:13]
	v_mul_f64 v[24:25], v[250:251], s[28:29]
	v_fma_f64 v[30:31], s[18:19], v[232:233], v[28:29]
	v_add_f64 v[12:13], v[26:27], v[12:13]
	v_mul_f64 v[20:21], v[248:249], s[2:3]
	v_fma_f64 v[26:27], s[14:15], v[230:231], v[24:25]
	v_add_f64 v[30:31], v[194:195], v[30:31]
	v_mul_f64 v[42:43], v[40:41], s[20:21]
	v_fmac_f64_e32 v[18:19], s[14:15], v[234:235]
	v_mul_f64 v[16:17], v[246:247], s[26:27]
	v_fma_f64 v[22:23], s[0:1], v[228:229], v[20:21]
	v_add_f64 v[26:27], v[26:27], v[30:31]
	v_mul_f64 v[36:37], v[34:35], s[28:29]
	v_fma_f64 v[216:217], v[242:243], s[18:19], -v[42:43]
	v_add_f64 v[212:213], v[18:19], v[12:13]
	v_mul_f64 v[12:13], v[244:245], s[30:31]
	v_fma_f64 v[18:19], s[22:23], v[226:227], v[16:17]
	v_add_f64 v[22:23], v[22:23], v[26:27]
	v_mul_f64 v[30:31], v[10:11], s[2:3]
	v_fma_f64 v[38:39], v[240:241], s[14:15], -v[36:37]
	v_add_f64 v[216:217], v[192:193], v[216:217]
	v_fma_f64 v[14:15], s[8:9], v[224:225], v[12:13]
	v_add_f64 v[18:19], v[18:19], v[22:23]
	v_mul_f64 v[22:23], v[8:9], s[26:27]
	v_fma_f64 v[32:33], v[238:239], s[0:1], -v[30:31]
	v_add_f64 v[38:39], v[38:39], v[216:217]
	v_add_f64 v[218:219], v[14:15], v[18:19]
	v_mul_f64 v[14:15], v[254:255], s[30:31]
	v_fma_f64 v[26:27], v[236:237], s[22:23], -v[22:23]
	v_add_f64 v[32:33], v[32:33], v[38:39]
	v_fma_f64 v[18:19], v[234:235], s[8:9], -v[14:15]
	v_add_f64 v[26:27], v[26:27], v[32:33]
	v_add_f64 v[216:217], v[18:19], v[26:27]
	v_fma_f64 v[18:19], v[228:229], s[0:1], -v[20:21]
	v_fma_f64 v[20:21], v[230:231], s[14:15], -v[24:25]
	v_fma_f64 v[24:25], v[232:233], s[18:19], -v[28:29]
	v_add_f64 v[24:25], v[194:195], v[24:25]
	v_add_f64 v[20:21], v[20:21], v[24:25]
	v_fma_f64 v[16:17], v[226:227], s[22:23], -v[16:17]
	v_add_f64 v[18:19], v[18:19], v[20:21]
	v_fma_f64 v[12:13], v[224:225], s[8:9], -v[12:13]
	v_add_f64 v[16:17], v[16:17], v[18:19]
	v_fmac_f64_e32 v[42:43], s[18:19], v[242:243]
	v_add_f64 v[222:223], v[12:13], v[16:17]
	v_fmac_f64_e32 v[36:37], s[14:15], v[240:241]
	;; [unrolled: 2-line block ×3, first 2 shown]
	v_add_f64 v[12:13], v[36:37], v[12:13]
	v_mul_f64 v[28:29], v[252:253], s[16:17]
	v_add_f64 v[12:13], v[30:31], v[12:13]
	v_mul_f64 v[24:25], v[250:251], s[34:35]
	v_fma_f64 v[30:31], s[14:15], v[232:233], v[28:29]
	v_mul_f64 v[4:5], v[40:41], s[16:17]
	v_mov_b32_e32 v7, v68
	v_mov_b64_e32 v[70:71], v[46:47]
	v_fmac_f64_e32 v[22:23], s[22:23], v[236:237]
	v_mul_f64 v[20:21], v[248:249], s[30:31]
	v_fma_f64 v[26:27], s[22:23], v[230:231], v[24:25]
	v_add_f64 v[30:31], v[194:195], v[30:31]
	v_mul_f64 v[38:39], v[34:35], s[34:35]
	v_mov_b64_e32 v[68:69], v[44:45]
	v_fma_f64 v[44:45], v[242:243], s[14:15], -v[4:5]
	v_fmac_f64_e32 v[14:15], s[8:9], v[234:235]
	v_add_f64 v[12:13], v[22:23], v[12:13]
	v_mul_f64 v[18:19], v[246:247], s[2:3]
	v_fma_f64 v[22:23], s[8:9], v[228:229], v[20:21]
	v_add_f64 v[26:27], v[26:27], v[30:31]
	v_mul_f64 v[32:33], v[10:11], s[30:31]
	v_fma_f64 v[42:43], v[240:241], s[22:23], -v[38:39]
	v_add_f64 v[44:45], v[192:193], v[44:45]
	v_add_f64 v[220:221], v[14:15], v[12:13]
	v_mul_f64 v[12:13], v[244:245], s[20:21]
	v_fma_f64 v[16:17], s[0:1], v[226:227], v[18:19]
	v_add_f64 v[22:23], v[22:23], v[26:27]
	v_mul_f64 v[26:27], v[8:9], s[2:3]
	v_fma_f64 v[36:37], v[238:239], s[8:9], -v[32:33]
	v_add_f64 v[42:43], v[42:43], v[44:45]
	v_fma_f64 v[14:15], s[18:19], v[224:225], v[12:13]
	v_add_f64 v[16:17], v[16:17], v[22:23]
	v_mul_f64 v[22:23], v[254:255], s[20:21]
	v_fma_f64 v[30:31], v[236:237], s[0:1], -v[26:27]
	v_add_f64 v[36:37], v[36:37], v[42:43]
	v_fma_f64 v[28:29], v[232:233], s[14:15], -v[28:29]
	v_fmac_f64_e32 v[4:5], s[14:15], v[242:243]
	v_add_f64 v[16:17], v[14:15], v[16:17]
	v_fma_f64 v[14:15], v[234:235], s[18:19], -v[22:23]
	v_add_f64 v[30:31], v[30:31], v[36:37]
	v_fma_f64 v[24:25], v[230:231], s[22:23], -v[24:25]
	v_add_f64 v[28:29], v[194:195], v[28:29]
	v_fmac_f64_e32 v[38:39], s[22:23], v[240:241]
	v_add_f64 v[4:5], v[192:193], v[4:5]
	v_mul_f64 v[36:37], v[252:253], s[12:13]
	v_accvgpr_write_b32 a48, v72
	v_add_f64 v[14:15], v[14:15], v[30:31]
	v_fma_f64 v[20:21], v[228:229], s[8:9], -v[20:21]
	v_add_f64 v[24:25], v[24:25], v[28:29]
	v_fmac_f64_e32 v[32:33], s[8:9], v[238:239]
	v_add_f64 v[4:5], v[38:39], v[4:5]
	v_mul_f64 v[30:31], v[250:251], s[20:21]
	v_fma_f64 v[38:39], s[8:9], v[232:233], v[36:37]
	v_accvgpr_write_b32 a49, v73
	v_accvgpr_write_b32 a50, v74
	;; [unrolled: 1-line block ×3, first 2 shown]
	v_mov_b64_e32 v[74:75], v[50:51]
	v_fma_f64 v[18:19], v[226:227], s[0:1], -v[18:19]
	v_add_f64 v[20:21], v[20:21], v[24:25]
	v_fmac_f64_e32 v[26:27], s[0:1], v[236:237]
	v_add_f64 v[4:5], v[32:33], v[4:5]
	v_mul_f64 v[28:29], v[248:249], s[34:35]
	v_fma_f64 v[32:33], s[18:19], v[230:231], v[30:31]
	v_add_f64 v[38:39], v[194:195], v[38:39]
	v_mov_b64_e32 v[72:73], v[48:49]
	v_mul_f64 v[48:49], v[40:41], s[12:13]
	v_fma_f64 v[12:13], v[224:225], s[18:19], -v[12:13]
	v_add_f64 v[18:19], v[18:19], v[20:21]
	v_fmac_f64_e32 v[22:23], s[18:19], v[234:235]
	v_add_f64 v[4:5], v[26:27], v[4:5]
	v_mul_f64 v[26:27], v[246:247], s[28:29]
	v_fma_f64 v[24:25], s[22:23], v[228:229], v[28:29]
	v_add_f64 v[32:33], v[32:33], v[38:39]
	v_mul_f64 v[46:47], v[34:35], s[20:21]
	v_fma_f64 v[50:51], v[242:243], s[8:9], -v[48:49]
	v_add_f64 v[20:21], v[12:13], v[18:19]
	v_add_f64 v[18:19], v[22:23], v[4:5]
	v_mul_f64 v[4:5], v[244:245], s[24:25]
	v_fma_f64 v[22:23], s[14:15], v[226:227], v[26:27]
	v_add_f64 v[24:25], v[24:25], v[32:33]
	v_mul_f64 v[42:43], v[10:11], s[34:35]
	v_fma_f64 v[2:3], v[240:241], s[18:19], -v[46:47]
	v_add_f64 v[50:51], v[192:193], v[50:51]
	v_fma_f64 v[12:13], s[0:1], v[224:225], v[4:5]
	v_add_f64 v[22:23], v[22:23], v[24:25]
	v_mul_f64 v[32:33], v[8:9], s[28:29]
	v_fma_f64 v[44:45], v[238:239], s[22:23], -v[42:43]
	v_add_f64 v[2:3], v[2:3], v[50:51]
	v_add_f64 v[24:25], v[12:13], v[22:23]
	v_mul_f64 v[12:13], v[254:255], s[24:25]
	v_fma_f64 v[38:39], v[236:237], s[14:15], -v[32:33]
	v_add_f64 v[2:3], v[44:45], v[2:3]
	v_fma_f64 v[22:23], v[234:235], s[0:1], -v[12:13]
	v_add_f64 v[2:3], v[38:39], v[2:3]
	v_add_f64 v[22:23], v[22:23], v[2:3]
	v_fma_f64 v[2:3], v[224:225], s[0:1], -v[4:5]
	v_fma_f64 v[4:5], v[226:227], s[14:15], -v[26:27]
	;; [unrolled: 1-line block ×5, first 2 shown]
	v_add_f64 v[30:31], v[194:195], v[30:31]
	v_add_f64 v[28:29], v[28:29], v[30:31]
	;; [unrolled: 1-line block ×4, first 2 shown]
	v_fmac_f64_e32 v[48:49], s[8:9], v[242:243]
	v_add_f64 v[28:29], v[2:3], v[4:5]
	v_fmac_f64_e32 v[46:47], s[18:19], v[240:241]
	v_add_f64 v[2:3], v[192:193], v[48:49]
	;; [unrolled: 2-line block ×3, first 2 shown]
	v_mul_f64 v[44:45], v[252:253], s[2:3]
	v_fmac_f64_e32 v[32:33], s[14:15], v[236:237]
	v_add_f64 v[2:3], v[42:43], v[2:3]
	v_mul_f64 v[38:39], v[250:251], s[12:13]
	v_fma_f64 v[46:47], s[0:1], v[232:233], v[44:45]
	v_fmac_f64_e32 v[12:13], s[0:1], v[234:235]
	v_add_f64 v[2:3], v[32:33], v[2:3]
	v_mul_f64 v[32:33], v[248:249], s[16:17]
	v_fma_f64 v[42:43], s[8:9], v[230:231], v[38:39]
	v_add_f64 v[46:47], v[194:195], v[46:47]
	v_mul_f64 v[40:41], v[40:41], s[2:3]
	v_add_f64 v[26:27], v[12:13], v[2:3]
	v_mul_f64 v[12:13], v[246:247], s[20:21]
	v_fma_f64 v[36:37], s[14:15], v[228:229], v[32:33]
	v_add_f64 v[42:43], v[42:43], v[46:47]
	v_mul_f64 v[34:35], v[34:35], s[12:13]
	v_fma_f64 v[48:49], v[242:243], s[0:1], -v[40:41]
	v_mul_f64 v[2:3], v[244:245], s[26:27]
	v_fma_f64 v[30:31], s[18:19], v[226:227], v[12:13]
	v_add_f64 v[36:37], v[36:37], v[42:43]
	v_mul_f64 v[42:43], v[10:11], s[16:17]
	v_fma_f64 v[46:47], v[240:241], s[8:9], -v[34:35]
	v_add_f64 v[48:49], v[192:193], v[48:49]
	v_fma_f64 v[4:5], s[22:23], v[224:225], v[2:3]
	v_add_f64 v[30:31], v[30:31], v[36:37]
	v_mul_f64 v[8:9], v[8:9], s[20:21]
	v_fma_f64 v[10:11], v[238:239], s[14:15], -v[42:43]
	v_add_f64 v[46:47], v[46:47], v[48:49]
	v_add_f64 v[246:247], v[4:5], v[30:31]
	v_mul_f64 v[4:5], v[254:255], s[26:27]
	v_fma_f64 v[36:37], v[236:237], s[18:19], -v[8:9]
	v_add_f64 v[10:11], v[10:11], v[46:47]
	v_fma_f64 v[30:31], v[234:235], s[22:23], -v[4:5]
	v_add_f64 v[10:11], v[36:37], v[10:11]
	v_add_f64 v[244:245], v[30:31], v[10:11]
	v_fma_f64 v[10:11], v[226:227], s[18:19], -v[12:13]
	v_fma_f64 v[12:13], v[228:229], s[14:15], -v[32:33]
	;; [unrolled: 1-line block ×4, first 2 shown]
	v_add_f64 v[32:33], v[194:195], v[32:33]
	v_add_f64 v[30:31], v[30:31], v[32:33]
	;; [unrolled: 1-line block ×3, first 2 shown]
	v_fma_f64 v[2:3], v[224:225], s[22:23], -v[2:3]
	v_add_f64 v[10:11], v[10:11], v[12:13]
	v_fmac_f64_e32 v[40:41], s[0:1], v[242:243]
	v_add_f64 v[10:11], v[2:3], v[10:11]
	v_fmac_f64_e32 v[34:35], s[8:9], v[240:241]
	v_add_f64 v[2:3], v[192:193], v[40:41]
	v_fmac_f64_e32 v[42:43], s[14:15], v[238:239]
	v_add_f64 v[2:3], v[34:35], v[2:3]
	v_fmac_f64_e32 v[8:9], s[18:19], v[236:237]
	v_add_f64 v[2:3], v[42:43], v[2:3]
	v_fmac_f64_e32 v[4:5], s[22:23], v[234:235]
	v_add_f64 v[2:3], v[8:9], v[2:3]
	v_add_f64 v[8:9], v[4:5], v[2:3]
	;; [unrolled: 1-line block ×20, first 2 shown]
	v_accvgpr_read_b32 v79, a55
	v_add_f64 v[2:3], v[2:3], v[72:73]
	v_accvgpr_read_b32 v75, a51
	v_accvgpr_read_b32 v78, a54
	;; [unrolled: 1-line block ×7, first 2 shown]
	v_add_f64 v[44:45], v[2:3], v[68:69]
	v_lshlrev_b32_e32 v2, 4, v7
	ds_write_b128 v2, v[44:47]
	ds_write_b128 v2, v[8:11] offset:16
	ds_write_b128 v2, v[26:29] offset:32
	;; [unrolled: 1-line block ×10, first 2 shown]
.LBB0_13:
	s_or_b64 exec, exec, s[36:37]
	s_waitcnt lgkmcnt(0)
	; wave barrier
	s_waitcnt lgkmcnt(0)
	ds_read_b128 v[44:47], v0
	ds_read_b128 v[48:51], v0 offset:880
	ds_read_b128 v[8:11], v0 offset:5280
	;; [unrolled: 1-line block ×14, first 2 shown]
	s_waitcnt lgkmcnt(11)
	v_mul_f64 v[32:33], v[98:99], v[16:17]
	v_fmac_f64_e32 v[32:33], v[96:97], v[14:15]
	v_mul_f64 v[14:15], v[98:99], v[14:15]
	s_waitcnt lgkmcnt(8)
	v_mul_f64 v[4:5], v[86:87], v[26:27]
	v_fma_f64 v[34:35], v[96:97], v[16:17], -v[14:15]
	s_waitcnt lgkmcnt(2)
	v_mul_f64 v[14:15], v[94:95], v[198:199]
	v_mul_f64 v[2:3], v[86:87], v[28:29]
	v_fma_f64 v[4:5], v[84:85], v[28:29], -v[4:5]
	v_mul_f64 v[28:29], v[74:75], v[20:21]
	v_fma_f64 v[38:39], v[92:93], v[200:201], -v[14:15]
	v_mul_f64 v[14:15], v[90:91], v[22:23]
	v_mul_f64 v[12:13], v[82:83], v[10:11]
	v_fmac_f64_e32 v[28:29], v[72:73], v[18:19]
	v_mul_f64 v[18:19], v[74:75], v[18:19]
	v_fma_f64 v[42:43], v[88:89], v[24:25], -v[14:15]
	v_mul_f64 v[14:15], v[118:119], v[60:61]
	v_fmac_f64_e32 v[12:13], v[80:81], v[8:9]
	v_mul_f64 v[8:9], v[82:83], v[8:9]
	v_fma_f64 v[18:19], v[72:73], v[20:21], -v[18:19]
	v_fma_f64 v[72:73], v[116:117], v[62:63], -v[14:15]
	v_mul_f64 v[14:15], v[114:115], v[68:69]
	v_fmac_f64_e32 v[2:3], v[84:85], v[26:27]
	v_fma_f64 v[8:9], v[80:81], v[10:11], -v[8:9]
	v_mul_f64 v[10:11], v[78:79], v[66:67]
	v_mul_f64 v[26:27], v[78:79], v[64:65]
	v_fma_f64 v[74:75], v[112:113], v[70:71], -v[14:15]
	s_waitcnt lgkmcnt(1)
	v_mul_f64 v[14:15], v[110:111], v[202:203]
	v_fmac_f64_e32 v[10:11], v[76:77], v[64:65]
	v_fma_f64 v[26:27], v[76:77], v[66:67], -v[26:27]
	v_fma_f64 v[76:77], v[108:109], v[204:205], -v[14:15]
	s_waitcnt lgkmcnt(0)
	v_mul_f64 v[14:15], v[106:107], v[206:207]
	v_fma_f64 v[78:79], v[104:105], v[208:209], -v[14:15]
	v_add_f64 v[14:15], v[44:45], v[2:3]
	v_add_f64 v[14:15], v[14:15], v[12:13]
	v_mul_f64 v[80:81], v[118:119], v[62:63]
	v_add_f64 v[14:15], v[14:15], v[10:11]
	v_mad_u64_u32 v[194:195], s[0:1], s6, v6, 0
	v_mul_f64 v[20:21], v[102:103], v[58:59]
	v_fmac_f64_e32 v[80:81], v[116:117], v[60:61]
	v_add_f64 v[60:61], v[14:15], v[28:29]
	v_add_f64 v[14:15], v[12:13], v[10:11]
	s_mov_b32 s2, 0x134454ff
	v_mov_b32_e32 v192, s10
	v_mov_b32_e32 v193, s11
	v_fmac_f64_e32 v[20:21], v[100:101], v[56:57]
	v_mul_f64 v[30:31], v[102:103], v[56:57]
	v_mul_f64 v[40:41], v[90:91], v[24:25]
	v_fma_f64 v[56:57], -0.5, v[14:15], v[44:45]
	v_add_f64 v[14:15], v[4:5], -v[18:19]
	s_mov_b32 s3, 0xbfee6f0e
	s_mov_b32 s0, 0x4755a5e
	;; [unrolled: 1-line block ×4, first 2 shown]
	v_fmac_f64_e32 v[40:41], v[88:89], v[22:23]
	v_fma_f64 v[64:65], s[2:3], v[14:15], v[56:57]
	v_add_f64 v[16:17], v[8:9], -v[26:27]
	s_mov_b32 s1, 0xbfe2cf23
	v_add_f64 v[22:23], v[2:3], -v[12:13]
	v_add_f64 v[24:25], v[28:29], -v[10:11]
	s_mov_b32 s8, 0x372fe950
	v_fmac_f64_e32 v[56:57], s[10:11], v[14:15]
	s_mov_b32 s13, 0x3fe2cf23
	s_mov_b32 s12, s0
	v_fmac_f64_e32 v[64:65], s[0:1], v[16:17]
	v_add_f64 v[22:23], v[22:23], v[24:25]
	s_mov_b32 s9, 0x3fd3c6ef
	v_fmac_f64_e32 v[56:57], s[12:13], v[16:17]
	v_fmac_f64_e32 v[64:65], s[8:9], v[22:23]
	;; [unrolled: 1-line block ×3, first 2 shown]
	v_add_f64 v[22:23], v[2:3], v[28:29]
	v_mul_f64 v[82:83], v[114:115], v[70:71]
	v_fmac_f64_e32 v[44:45], -0.5, v[22:23]
	v_fmac_f64_e32 v[82:83], v[112:113], v[68:69]
	v_fma_f64 v[68:69], s[10:11], v[16:17], v[44:45]
	v_fmac_f64_e32 v[44:45], s[2:3], v[16:17]
	v_fmac_f64_e32 v[68:69], s[0:1], v[14:15]
	;; [unrolled: 1-line block ×3, first 2 shown]
	v_add_f64 v[14:15], v[46:47], v[4:5]
	v_add_f64 v[14:15], v[14:15], v[8:9]
	v_add_f64 v[14:15], v[14:15], v[26:27]
	v_add_f64 v[62:63], v[14:15], v[18:19]
	v_add_f64 v[14:15], v[8:9], v[26:27]
	v_fma_f64 v[30:31], v[100:101], v[58:59], -v[30:31]
	v_add_f64 v[22:23], v[12:13], -v[2:3]
	v_fma_f64 v[58:59], -0.5, v[14:15], v[46:47]
	v_add_f64 v[2:3], v[2:3], -v[28:29]
	v_add_f64 v[24:25], v[10:11], -v[28:29]
	v_fma_f64 v[66:67], s[10:11], v[2:3], v[58:59]
	v_add_f64 v[10:11], v[12:13], -v[10:11]
	v_add_f64 v[12:13], v[4:5], -v[8:9]
	;; [unrolled: 1-line block ×3, first 2 shown]
	v_fmac_f64_e32 v[58:59], s[2:3], v[2:3]
	v_fmac_f64_e32 v[66:67], s[12:13], v[10:11]
	v_add_f64 v[12:13], v[12:13], v[14:15]
	v_fmac_f64_e32 v[58:59], s[0:1], v[10:11]
	v_fmac_f64_e32 v[66:67], s[8:9], v[12:13]
	;; [unrolled: 1-line block ×3, first 2 shown]
	v_add_f64 v[12:13], v[4:5], v[18:19]
	v_fmac_f64_e32 v[46:47], -0.5, v[12:13]
	v_fma_f64 v[70:71], s[2:3], v[10:11], v[46:47]
	v_fmac_f64_e32 v[46:47], s[10:11], v[10:11]
	v_mul_f64 v[36:37], v[94:95], v[200:201]
	v_fmac_f64_e32 v[70:71], s[12:13], v[2:3]
	v_fmac_f64_e32 v[46:47], s[0:1], v[2:3]
	v_add_f64 v[2:3], v[48:49], v[20:21]
	v_fmac_f64_e32 v[36:37], v[92:93], v[198:199]
	v_add_f64 v[2:3], v[2:3], v[32:33]
	v_add_f64 v[4:5], v[8:9], -v[4:5]
	v_add_f64 v[8:9], v[26:27], -v[18:19]
	v_add_f64 v[2:3], v[2:3], v[36:37]
	v_add_f64 v[4:5], v[4:5], v[8:9]
	;; [unrolled: 1-line block ×4, first 2 shown]
	v_fma_f64 v[14:15], -0.5, v[2:3], v[48:49]
	v_add_f64 v[2:3], v[30:31], -v[42:43]
	v_fmac_f64_e32 v[70:71], s[8:9], v[4:5]
	v_fmac_f64_e32 v[46:47], s[8:9], v[4:5]
	v_fma_f64 v[18:19], s[2:3], v[2:3], v[14:15]
	v_add_f64 v[4:5], v[34:35], -v[38:39]
	v_add_f64 v[10:11], v[20:21], -v[32:33]
	;; [unrolled: 1-line block ×3, first 2 shown]
	v_fmac_f64_e32 v[14:15], s[10:11], v[2:3]
	v_fmac_f64_e32 v[18:19], s[0:1], v[4:5]
	v_add_f64 v[10:11], v[10:11], v[12:13]
	v_fmac_f64_e32 v[14:15], s[12:13], v[4:5]
	v_fmac_f64_e32 v[18:19], s[8:9], v[10:11]
	;; [unrolled: 1-line block ×3, first 2 shown]
	v_add_f64 v[10:11], v[20:21], v[40:41]
	v_add_f64 v[22:23], v[22:23], v[24:25]
	v_fmac_f64_e32 v[48:49], -0.5, v[10:11]
	v_fmac_f64_e32 v[68:69], s[8:9], v[22:23]
	v_fmac_f64_e32 v[44:45], s[8:9], v[22:23]
	v_fma_f64 v[22:23], s[10:11], v[4:5], v[48:49]
	v_fmac_f64_e32 v[48:49], s[2:3], v[4:5]
	v_fmac_f64_e32 v[22:23], s[0:1], v[2:3]
	;; [unrolled: 1-line block ×3, first 2 shown]
	v_add_f64 v[2:3], v[50:51], v[30:31]
	v_add_f64 v[10:11], v[32:33], -v[20:21]
	v_add_f64 v[12:13], v[36:37], -v[40:41]
	v_add_f64 v[2:3], v[2:3], v[34:35]
	v_add_f64 v[10:11], v[10:11], v[12:13]
	v_add_f64 v[2:3], v[2:3], v[38:39]
	v_fmac_f64_e32 v[22:23], s[8:9], v[10:11]
	v_fmac_f64_e32 v[48:49], s[8:9], v[10:11]
	v_add_f64 v[10:11], v[2:3], v[42:43]
	v_add_f64 v[2:3], v[34:35], v[38:39]
	v_fma_f64 v[16:17], -0.5, v[2:3], v[50:51]
	v_add_f64 v[2:3], v[20:21], -v[40:41]
	v_fma_f64 v[20:21], s[10:11], v[2:3], v[16:17]
	v_add_f64 v[4:5], v[32:33], -v[36:37]
	v_add_f64 v[12:13], v[30:31], -v[34:35]
	;; [unrolled: 1-line block ×3, first 2 shown]
	v_fmac_f64_e32 v[16:17], s[2:3], v[2:3]
	v_fmac_f64_e32 v[20:21], s[12:13], v[4:5]
	v_add_f64 v[12:13], v[12:13], v[24:25]
	v_fmac_f64_e32 v[16:17], s[0:1], v[4:5]
	v_fmac_f64_e32 v[20:21], s[8:9], v[12:13]
	;; [unrolled: 1-line block ×3, first 2 shown]
	v_add_f64 v[12:13], v[30:31], v[42:43]
	v_fmac_f64_e32 v[50:51], -0.5, v[12:13]
	v_fma_f64 v[24:25], s[2:3], v[4:5], v[50:51]
	v_fmac_f64_e32 v[50:51], s[10:11], v[4:5]
	v_mul_f64 v[84:85], v[110:111], v[204:205]
	v_fmac_f64_e32 v[24:25], s[12:13], v[2:3]
	v_fmac_f64_e32 v[50:51], s[0:1], v[2:3]
	v_add_f64 v[2:3], v[52:53], v[80:81]
	v_fmac_f64_e32 v[84:85], v[108:109], v[202:203]
	v_mul_f64 v[86:87], v[106:107], v[208:209]
	v_add_f64 v[2:3], v[2:3], v[82:83]
	v_fmac_f64_e32 v[86:87], v[104:105], v[206:207]
	v_add_f64 v[12:13], v[34:35], -v[30:31]
	v_add_f64 v[26:27], v[38:39], -v[42:43]
	v_add_f64 v[2:3], v[2:3], v[84:85]
	v_add_f64 v[12:13], v[12:13], v[26:27]
	;; [unrolled: 1-line block ×4, first 2 shown]
	v_fma_f64 v[88:89], -0.5, v[2:3], v[52:53]
	v_add_f64 v[2:3], v[72:73], -v[78:79]
	v_fmac_f64_e32 v[24:25], s[8:9], v[12:13]
	v_fmac_f64_e32 v[50:51], s[8:9], v[12:13]
	v_fma_f64 v[92:93], s[2:3], v[2:3], v[88:89]
	v_add_f64 v[4:5], v[74:75], -v[76:77]
	v_add_f64 v[12:13], v[80:81], -v[82:83]
	;; [unrolled: 1-line block ×3, first 2 shown]
	v_fmac_f64_e32 v[88:89], s[10:11], v[2:3]
	v_fmac_f64_e32 v[92:93], s[0:1], v[4:5]
	v_add_f64 v[12:13], v[12:13], v[28:29]
	v_fmac_f64_e32 v[88:89], s[12:13], v[4:5]
	v_fmac_f64_e32 v[92:93], s[8:9], v[12:13]
	;; [unrolled: 1-line block ×3, first 2 shown]
	v_add_f64 v[12:13], v[80:81], v[86:87]
	v_fmac_f64_e32 v[52:53], -0.5, v[12:13]
	v_fma_f64 v[96:97], s[10:11], v[4:5], v[52:53]
	v_fmac_f64_e32 v[52:53], s[2:3], v[4:5]
	v_fmac_f64_e32 v[96:97], s[0:1], v[2:3]
	;; [unrolled: 1-line block ×3, first 2 shown]
	v_add_f64 v[2:3], v[54:55], v[72:73]
	v_add_f64 v[2:3], v[2:3], v[74:75]
	v_add_f64 v[12:13], v[82:83], -v[80:81]
	v_add_f64 v[28:29], v[84:85], -v[86:87]
	v_add_f64 v[2:3], v[2:3], v[76:77]
	v_add_f64 v[12:13], v[12:13], v[28:29]
	;; [unrolled: 1-line block ×4, first 2 shown]
	v_fma_f64 v[90:91], -0.5, v[2:3], v[54:55]
	v_add_f64 v[2:3], v[80:81], -v[86:87]
	v_fmac_f64_e32 v[96:97], s[8:9], v[12:13]
	v_fmac_f64_e32 v[52:53], s[8:9], v[12:13]
	v_fma_f64 v[94:95], s[10:11], v[2:3], v[90:91]
	v_add_f64 v[4:5], v[82:83], -v[84:85]
	v_add_f64 v[12:13], v[72:73], -v[74:75]
	;; [unrolled: 1-line block ×3, first 2 shown]
	v_fmac_f64_e32 v[90:91], s[2:3], v[2:3]
	v_fmac_f64_e32 v[94:95], s[12:13], v[4:5]
	v_add_f64 v[12:13], v[12:13], v[30:31]
	v_fmac_f64_e32 v[90:91], s[0:1], v[4:5]
	v_fmac_f64_e32 v[94:95], s[8:9], v[12:13]
	;; [unrolled: 1-line block ×3, first 2 shown]
	v_add_f64 v[12:13], v[72:73], v[78:79]
	v_fmac_f64_e32 v[54:55], -0.5, v[12:13]
	v_fma_f64 v[98:99], s[2:3], v[4:5], v[54:55]
	v_fmac_f64_e32 v[54:55], s[10:11], v[4:5]
	v_fmac_f64_e32 v[98:99], s[12:13], v[2:3]
	v_add_f64 v[12:13], v[74:75], -v[72:73]
	v_add_f64 v[30:31], v[76:77], -v[78:79]
	v_fmac_f64_e32 v[54:55], s[0:1], v[2:3]
	v_accvgpr_read_b32 v2, a3
	v_add_f64 v[12:13], v[12:13], v[30:31]
	s_waitcnt lgkmcnt(0)
	; wave barrier
	ds_write_b128 v2, v[60:63]
	ds_write_b128 v2, v[64:67] offset:176
	ds_write_b128 v2, v[68:71] offset:352
	;; [unrolled: 1-line block ×4, first 2 shown]
	v_accvgpr_read_b32 v2, a56
	v_fmac_f64_e32 v[54:55], s[8:9], v[12:13]
	ds_write_b128 v2, v[8:11]
	ds_write_b128 v2, v[18:21] offset:176
	ds_write_b128 v2, v[22:25] offset:352
	;; [unrolled: 1-line block ×4, first 2 shown]
	v_accvgpr_read_b32 v2, a57
	v_fmac_f64_e32 v[98:99], s[8:9], v[12:13]
	ds_write_b128 v2, v[26:29]
	ds_write_b128 v2, v[92:95] offset:176
	ds_write_b128 v2, v[96:99] offset:352
	;; [unrolled: 1-line block ×4, first 2 shown]
	s_waitcnt lgkmcnt(0)
	; wave barrier
	s_waitcnt lgkmcnt(0)
	ds_read_b128 v[44:47], v0
	ds_read_b128 v[48:51], v0 offset:880
	ds_read_b128 v[8:11], v0 offset:5280
	;; [unrolled: 1-line block ×14, first 2 shown]
	s_waitcnt lgkmcnt(12)
	v_mul_f64 v[12:13], v[130:131], v[10:11]
	v_fmac_f64_e32 v[12:13], v[128:129], v[8:9]
	v_mul_f64 v[8:9], v[130:131], v[8:9]
	s_waitcnt lgkmcnt(8)
	v_mul_f64 v[4:5], v[134:135], v[26:27]
	v_fma_f64 v[10:11], v[128:129], v[10:11], -v[8:9]
	s_waitcnt lgkmcnt(4)
	v_mul_f64 v[8:9], v[126:127], v[64:65]
	v_mul_f64 v[2:3], v[134:135], v[28:29]
	v_fma_f64 v[4:5], v[132:133], v[28:29], -v[4:5]
	v_fma_f64 v[28:29], v[124:125], v[66:67], -v[8:9]
	v_mul_f64 v[30:31], v[122:123], v[20:21]
	v_mul_f64 v[8:9], v[122:123], v[18:19]
	v_fmac_f64_e32 v[30:31], v[120:121], v[18:19]
	v_fma_f64 v[18:19], v[120:121], v[20:21], -v[8:9]
	v_mul_f64 v[8:9], v[134:135], v[56:57]
	v_fma_f64 v[34:35], v[132:133], v[58:59], -v[8:9]
	v_mul_f64 v[8:9], v[130:131], v[14:15]
	v_fma_f64 v[38:39], v[128:129], v[16:17], -v[8:9]
	s_waitcnt lgkmcnt(2)
	v_mul_f64 v[8:9], v[126:127], v[72:73]
	v_fma_f64 v[42:43], v[124:125], v[74:75], -v[8:9]
	v_mul_f64 v[8:9], v[122:123], v[22:23]
	v_mul_f64 v[40:41], v[126:127], v[74:75]
	v_fma_f64 v[92:93], v[120:121], v[24:25], -v[8:9]
	v_mul_f64 v[8:9], v[150:151], v[60:61]
	v_mul_f64 v[36:37], v[130:131], v[16:17]
	v_fmac_f64_e32 v[40:41], v[124:125], v[72:73]
	v_fma_f64 v[72:73], v[148:149], v[62:63], -v[8:9]
	v_mul_f64 v[8:9], v[146:147], v[68:69]
	v_fmac_f64_e32 v[2:3], v[132:133], v[26:27]
	v_fmac_f64_e32 v[36:37], v[128:129], v[14:15]
	v_fma_f64 v[74:75], v[144:145], v[70:71], -v[8:9]
	s_waitcnt lgkmcnt(1)
	v_mul_f64 v[84:85], v[142:143], v[78:79]
	v_mul_f64 v[8:9], v[142:143], v[76:77]
	s_waitcnt lgkmcnt(0)
	v_mul_f64 v[14:15], v[138:139], v[86:87]
	v_mul_f64 v[26:27], v[126:127], v[66:67]
	v_fmac_f64_e32 v[84:85], v[140:141], v[76:77]
	v_fma_f64 v[76:77], v[140:141], v[78:79], -v[8:9]
	v_fma_f64 v[78:79], v[136:137], v[88:89], -v[14:15]
	v_add_f64 v[14:15], v[44:45], v[2:3]
	v_fmac_f64_e32 v[26:27], v[124:125], v[64:65]
	v_add_f64 v[14:15], v[14:15], v[12:13]
	v_mul_f64 v[80:81], v[150:151], v[62:63]
	v_add_f64 v[14:15], v[14:15], v[26:27]
	v_mul_f64 v[32:33], v[134:135], v[58:59]
	v_fmac_f64_e32 v[80:81], v[148:149], v[60:61]
	v_add_f64 v[60:61], v[14:15], v[30:31]
	v_add_f64 v[14:15], v[12:13], v[26:27]
	v_fmac_f64_e32 v[32:33], v[132:133], v[56:57]
	v_mul_f64 v[90:91], v[122:123], v[24:25]
	v_fma_f64 v[56:57], -0.5, v[14:15], v[44:45]
	v_add_f64 v[14:15], v[4:5], -v[18:19]
	v_fmac_f64_e32 v[90:91], v[120:121], v[22:23]
	v_fma_f64 v[64:65], s[2:3], v[14:15], v[56:57]
	v_add_f64 v[16:17], v[10:11], -v[28:29]
	v_add_f64 v[20:21], v[2:3], -v[12:13]
	;; [unrolled: 1-line block ×3, first 2 shown]
	v_fmac_f64_e32 v[56:57], s[10:11], v[14:15]
	v_fmac_f64_e32 v[64:65], s[0:1], v[16:17]
	v_add_f64 v[20:21], v[20:21], v[22:23]
	v_fmac_f64_e32 v[56:57], s[12:13], v[16:17]
	v_fmac_f64_e32 v[64:65], s[8:9], v[20:21]
	;; [unrolled: 1-line block ×3, first 2 shown]
	v_add_f64 v[20:21], v[2:3], v[30:31]
	v_mul_f64 v[82:83], v[146:147], v[70:71]
	v_fmac_f64_e32 v[44:45], -0.5, v[20:21]
	v_fmac_f64_e32 v[82:83], v[144:145], v[68:69]
	v_fma_f64 v[68:69], s[10:11], v[16:17], v[44:45]
	v_fmac_f64_e32 v[44:45], s[2:3], v[16:17]
	v_fmac_f64_e32 v[68:69], s[0:1], v[14:15]
	;; [unrolled: 1-line block ×3, first 2 shown]
	v_add_f64 v[14:15], v[46:47], v[4:5]
	v_add_f64 v[14:15], v[14:15], v[10:11]
	v_add_f64 v[14:15], v[14:15], v[28:29]
	v_add_f64 v[62:63], v[14:15], v[18:19]
	v_add_f64 v[14:15], v[10:11], v[28:29]
	v_add_f64 v[20:21], v[12:13], -v[2:3]
	v_fma_f64 v[58:59], -0.5, v[14:15], v[46:47]
	v_add_f64 v[2:3], v[2:3], -v[30:31]
	v_fma_f64 v[66:67], s[10:11], v[2:3], v[58:59]
	v_add_f64 v[12:13], v[12:13], -v[26:27]
	v_add_f64 v[14:15], v[4:5], -v[10:11]
	v_add_f64 v[16:17], v[18:19], -v[28:29]
	v_fmac_f64_e32 v[58:59], s[2:3], v[2:3]
	v_fmac_f64_e32 v[66:67], s[12:13], v[12:13]
	v_add_f64 v[14:15], v[14:15], v[16:17]
	v_fmac_f64_e32 v[58:59], s[0:1], v[12:13]
	v_fmac_f64_e32 v[66:67], s[8:9], v[14:15]
	;; [unrolled: 1-line block ×3, first 2 shown]
	v_add_f64 v[14:15], v[4:5], v[18:19]
	v_fmac_f64_e32 v[46:47], -0.5, v[14:15]
	v_fma_f64 v[70:71], s[2:3], v[12:13], v[46:47]
	v_fmac_f64_e32 v[46:47], s[10:11], v[12:13]
	v_fmac_f64_e32 v[70:71], s[12:13], v[2:3]
	;; [unrolled: 1-line block ×3, first 2 shown]
	v_add_f64 v[2:3], v[48:49], v[32:33]
	v_add_f64 v[2:3], v[2:3], v[36:37]
	v_add_f64 v[2:3], v[2:3], v[40:41]
	v_add_f64 v[4:5], v[10:11], -v[4:5]
	v_add_f64 v[10:11], v[28:29], -v[18:19]
	v_add_f64 v[14:15], v[2:3], v[90:91]
	v_add_f64 v[2:3], v[36:37], v[40:41]
	v_add_f64 v[22:23], v[26:27], -v[30:31]
	v_add_f64 v[4:5], v[4:5], v[10:11]
	v_fma_f64 v[18:19], -0.5, v[2:3], v[48:49]
	v_add_f64 v[2:3], v[34:35], -v[92:93]
	v_add_f64 v[20:21], v[20:21], v[22:23]
	v_fmac_f64_e32 v[70:71], s[8:9], v[4:5]
	v_fmac_f64_e32 v[46:47], s[8:9], v[4:5]
	v_fma_f64 v[22:23], s[2:3], v[2:3], v[18:19]
	v_add_f64 v[4:5], v[38:39], -v[42:43]
	v_add_f64 v[10:11], v[32:33], -v[36:37]
	;; [unrolled: 1-line block ×3, first 2 shown]
	v_fmac_f64_e32 v[18:19], s[10:11], v[2:3]
	v_fmac_f64_e32 v[22:23], s[0:1], v[4:5]
	v_add_f64 v[10:11], v[10:11], v[12:13]
	v_fmac_f64_e32 v[18:19], s[12:13], v[4:5]
	v_fmac_f64_e32 v[22:23], s[8:9], v[10:11]
	;; [unrolled: 1-line block ×3, first 2 shown]
	v_add_f64 v[10:11], v[32:33], v[90:91]
	v_fmac_f64_e32 v[48:49], -0.5, v[10:11]
	v_fma_f64 v[26:27], s[10:11], v[4:5], v[48:49]
	v_fmac_f64_e32 v[48:49], s[2:3], v[4:5]
	v_fmac_f64_e32 v[26:27], s[0:1], v[2:3]
	;; [unrolled: 1-line block ×3, first 2 shown]
	v_add_f64 v[2:3], v[50:51], v[34:35]
	v_add_f64 v[2:3], v[2:3], v[38:39]
	v_add_f64 v[2:3], v[2:3], v[42:43]
	v_add_f64 v[10:11], v[36:37], -v[32:33]
	v_add_f64 v[12:13], v[40:41], -v[90:91]
	v_add_f64 v[16:17], v[2:3], v[92:93]
	v_add_f64 v[2:3], v[38:39], v[42:43]
	v_fmac_f64_e32 v[68:69], s[8:9], v[20:21]
	v_fmac_f64_e32 v[44:45], s[8:9], v[20:21]
	v_add_f64 v[10:11], v[10:11], v[12:13]
	v_fma_f64 v[20:21], -0.5, v[2:3], v[50:51]
	v_add_f64 v[2:3], v[32:33], -v[90:91]
	v_fmac_f64_e32 v[26:27], s[8:9], v[10:11]
	v_fmac_f64_e32 v[48:49], s[8:9], v[10:11]
	v_fma_f64 v[24:25], s[10:11], v[2:3], v[20:21]
	v_add_f64 v[4:5], v[36:37], -v[40:41]
	v_add_f64 v[10:11], v[34:35], -v[38:39]
	;; [unrolled: 1-line block ×3, first 2 shown]
	v_fmac_f64_e32 v[20:21], s[2:3], v[2:3]
	v_fmac_f64_e32 v[24:25], s[12:13], v[4:5]
	v_add_f64 v[10:11], v[10:11], v[12:13]
	v_fmac_f64_e32 v[20:21], s[0:1], v[4:5]
	v_fmac_f64_e32 v[24:25], s[8:9], v[10:11]
	;; [unrolled: 1-line block ×3, first 2 shown]
	v_add_f64 v[10:11], v[34:35], v[92:93]
	v_fmac_f64_e32 v[50:51], -0.5, v[10:11]
	v_fma_f64 v[28:29], s[2:3], v[4:5], v[50:51]
	v_fmac_f64_e32 v[50:51], s[10:11], v[4:5]
	v_fmac_f64_e32 v[28:29], s[12:13], v[2:3]
	;; [unrolled: 1-line block ×3, first 2 shown]
	v_add_f64 v[2:3], v[52:53], v[80:81]
	v_mul_f64 v[8:9], v[138:139], v[88:89]
	v_add_f64 v[2:3], v[2:3], v[82:83]
	v_fmac_f64_e32 v[8:9], v[136:137], v[86:87]
	v_add_f64 v[2:3], v[2:3], v[84:85]
	v_add_f64 v[10:11], v[38:39], -v[34:35]
	v_add_f64 v[12:13], v[42:43], -v[92:93]
	v_add_f64 v[86:87], v[2:3], v[8:9]
	v_add_f64 v[2:3], v[82:83], v[84:85]
	;; [unrolled: 1-line block ×3, first 2 shown]
	v_fma_f64 v[90:91], -0.5, v[2:3], v[52:53]
	v_add_f64 v[2:3], v[72:73], -v[78:79]
	v_fmac_f64_e32 v[28:29], s[8:9], v[10:11]
	v_fmac_f64_e32 v[50:51], s[8:9], v[10:11]
	v_fma_f64 v[94:95], s[2:3], v[2:3], v[90:91]
	v_add_f64 v[4:5], v[74:75], -v[76:77]
	v_add_f64 v[10:11], v[80:81], -v[82:83]
	;; [unrolled: 1-line block ×3, first 2 shown]
	v_fmac_f64_e32 v[90:91], s[10:11], v[2:3]
	v_fmac_f64_e32 v[94:95], s[0:1], v[4:5]
	v_add_f64 v[10:11], v[10:11], v[12:13]
	v_fmac_f64_e32 v[90:91], s[12:13], v[4:5]
	v_fmac_f64_e32 v[94:95], s[8:9], v[10:11]
	;; [unrolled: 1-line block ×3, first 2 shown]
	v_add_f64 v[10:11], v[80:81], v[8:9]
	v_fmac_f64_e32 v[52:53], -0.5, v[10:11]
	v_fma_f64 v[98:99], s[10:11], v[4:5], v[52:53]
	v_fmac_f64_e32 v[52:53], s[2:3], v[4:5]
	v_fmac_f64_e32 v[98:99], s[0:1], v[2:3]
	;; [unrolled: 1-line block ×3, first 2 shown]
	v_add_f64 v[2:3], v[54:55], v[72:73]
	v_add_f64 v[2:3], v[2:3], v[74:75]
	;; [unrolled: 1-line block ×3, first 2 shown]
	v_add_f64 v[10:11], v[82:83], -v[80:81]
	v_add_f64 v[12:13], v[84:85], -v[8:9]
	v_add_f64 v[88:89], v[2:3], v[78:79]
	v_add_f64 v[2:3], v[74:75], v[76:77]
	;; [unrolled: 1-line block ×3, first 2 shown]
	v_fma_f64 v[92:93], -0.5, v[2:3], v[54:55]
	v_add_f64 v[2:3], v[80:81], -v[8:9]
	v_fmac_f64_e32 v[98:99], s[8:9], v[10:11]
	v_fmac_f64_e32 v[52:53], s[8:9], v[10:11]
	v_fma_f64 v[96:97], s[10:11], v[2:3], v[92:93]
	v_add_f64 v[4:5], v[82:83], -v[84:85]
	v_add_f64 v[8:9], v[72:73], -v[74:75]
	;; [unrolled: 1-line block ×3, first 2 shown]
	v_fmac_f64_e32 v[92:93], s[2:3], v[2:3]
	v_fmac_f64_e32 v[96:97], s[12:13], v[4:5]
	v_add_f64 v[8:9], v[8:9], v[10:11]
	v_fmac_f64_e32 v[92:93], s[0:1], v[4:5]
	v_fmac_f64_e32 v[96:97], s[8:9], v[8:9]
	;; [unrolled: 1-line block ×3, first 2 shown]
	v_add_f64 v[8:9], v[72:73], v[78:79]
	v_fmac_f64_e32 v[54:55], -0.5, v[8:9]
	v_fma_f64 v[100:101], s[2:3], v[4:5], v[54:55]
	v_add_f64 v[8:9], v[74:75], -v[72:73]
	v_add_f64 v[10:11], v[76:77], -v[78:79]
	v_fmac_f64_e32 v[54:55], s[10:11], v[4:5]
	v_add_f64 v[8:9], v[8:9], v[10:11]
	v_fmac_f64_e32 v[54:55], s[0:1], v[2:3]
	v_fmac_f64_e32 v[100:101], s[12:13], v[2:3]
	v_fmac_f64_e32 v[54:55], s[8:9], v[8:9]
	v_fmac_f64_e32 v[100:101], s[8:9], v[8:9]
	s_waitcnt lgkmcnt(0)
	; wave barrier
	ds_write_b128 v0, v[60:63]
	ds_write_b128 v0, v[64:67] offset:880
	ds_write_b128 v0, v[68:71] offset:1760
	;; [unrolled: 1-line block ×14, first 2 shown]
	s_waitcnt lgkmcnt(0)
	; wave barrier
	s_waitcnt lgkmcnt(0)
	ds_read_b128 v[44:47], v0
	ds_read_b128 v[48:51], v0 offset:880
	ds_read_b128 v[8:11], v0 offset:8800
	;; [unrolled: 1-line block ×14, first 2 shown]
	s_waitcnt lgkmcnt(12)
	v_mul_f64 v[32:33], v[158:159], v[10:11]
	v_fmac_f64_e32 v[32:33], v[156:157], v[8:9]
	v_mul_f64 v[8:9], v[158:159], v[8:9]
	v_fma_f64 v[34:35], v[156:157], v[10:11], -v[8:9]
	s_waitcnt lgkmcnt(10)
	v_mul_f64 v[8:9], v[162:163], v[16:17]
	v_fma_f64 v[38:39], v[160:161], v[18:19], -v[8:9]
	v_mul_f64 v[8:9], v[166:167], v[12:13]
	s_waitcnt lgkmcnt(4)
	v_mul_f64 v[4:5], v[154:155], v[64:65]
	v_fma_f64 v[42:43], v[164:165], v[14:15], -v[8:9]
	v_mul_f64 v[8:9], v[170:171], v[20:21]
	v_mul_f64 v[2:3], v[154:155], v[66:67]
	v_fma_f64 v[4:5], v[152:153], v[66:67], -v[4:5]
	v_fma_f64 v[66:67], v[168:169], v[22:23], -v[8:9]
	v_mul_f64 v[8:9], v[174:175], v[24:25]
	v_fma_f64 v[82:83], v[172:173], v[26:27], -v[8:9]
	s_waitcnt lgkmcnt(2)
	v_mul_f64 v[8:9], v[178:179], v[68:69]
	v_mul_f64 v[84:85], v[178:179], v[70:71]
	v_fma_f64 v[70:71], v[176:177], v[70:71], -v[8:9]
	v_mul_f64 v[8:9], v[182:183], v[28:29]
	v_fmac_f64_e32 v[2:3], v[152:153], v[64:65]
	v_fma_f64 v[88:89], v[180:181], v[30:31], -v[8:9]
	s_waitcnt lgkmcnt(1)
	v_mul_f64 v[8:9], v[186:187], v[72:73]
	v_fma_f64 v[92:93], v[184:185], v[74:75], -v[8:9]
	s_waitcnt lgkmcnt(0)
	v_mul_f64 v[8:9], v[190:191], v[76:77]
	v_add_f64 v[10:11], v[2:3], v[32:33]
	s_mov_b32 s0, 0xe8584caa
	v_mul_f64 v[40:41], v[166:167], v[14:15]
	v_mul_f64 v[94:95], v[190:191], v[78:79]
	v_fma_f64 v[78:79], v[188:189], v[78:79], -v[8:9]
	v_add_f64 v[8:9], v[44:45], v[2:3]
	v_fmac_f64_e32 v[44:45], -0.5, v[10:11]
	v_add_f64 v[10:11], v[4:5], -v[34:35]
	s_mov_b32 s1, 0xbfebb67a
	s_mov_b32 s3, 0x3febb67a
	;; [unrolled: 1-line block ×3, first 2 shown]
	v_mul_f64 v[36:37], v[162:163], v[18:19]
	v_fmac_f64_e32 v[40:41], v[164:165], v[12:13]
	v_fma_f64 v[12:13], s[0:1], v[10:11], v[44:45]
	v_fmac_f64_e32 v[44:45], s[2:3], v[10:11]
	v_add_f64 v[10:11], v[46:47], v[4:5]
	v_add_f64 v[4:5], v[4:5], v[34:35]
	v_fmac_f64_e32 v[36:37], v[160:161], v[16:17]
	v_fmac_f64_e32 v[46:47], -0.5, v[4:5]
	v_add_f64 v[2:3], v[2:3], -v[32:33]
	v_fma_f64 v[14:15], s[2:3], v[2:3], v[46:47]
	v_fmac_f64_e32 v[46:47], s[0:1], v[2:3]
	v_add_f64 v[2:3], v[48:49], v[36:37]
	v_add_f64 v[16:17], v[2:3], v[40:41]
	v_add_f64 v[2:3], v[36:37], v[40:41]
	v_mul_f64 v[64:65], v[170:171], v[22:23]
	v_fmac_f64_e32 v[48:49], -0.5, v[2:3]
	v_add_f64 v[2:3], v[38:39], -v[42:43]
	v_fmac_f64_e32 v[64:65], v[168:169], v[20:21]
	v_fma_f64 v[20:21], s[0:1], v[2:3], v[48:49]
	v_fmac_f64_e32 v[48:49], s[2:3], v[2:3]
	v_add_f64 v[2:3], v[50:51], v[38:39]
	v_add_f64 v[18:19], v[2:3], v[42:43]
	v_add_f64 v[2:3], v[38:39], v[42:43]
	v_mul_f64 v[80:81], v[174:175], v[26:27]
	v_fmac_f64_e32 v[50:51], -0.5, v[2:3]
	v_add_f64 v[2:3], v[36:37], -v[40:41]
	v_fmac_f64_e32 v[80:81], v[172:173], v[24:25]
	v_fma_f64 v[22:23], s[2:3], v[2:3], v[50:51]
	v_fmac_f64_e32 v[50:51], s[0:1], v[2:3]
	v_add_f64 v[2:3], v[52:53], v[64:65]
	v_add_f64 v[24:25], v[2:3], v[80:81]
	v_add_f64 v[2:3], v[64:65], v[80:81]
	v_mul_f64 v[86:87], v[182:183], v[30:31]
	v_fmac_f64_e32 v[52:53], -0.5, v[2:3]
	v_add_f64 v[2:3], v[66:67], -v[82:83]
	v_fmac_f64_e32 v[86:87], v[180:181], v[28:29]
	v_fma_f64 v[28:29], s[0:1], v[2:3], v[52:53]
	v_fmac_f64_e32 v[52:53], s[2:3], v[2:3]
	v_add_f64 v[2:3], v[54:55], v[66:67]
	v_add_f64 v[26:27], v[2:3], v[82:83]
	;; [unrolled: 1-line block ×3, first 2 shown]
	v_fmac_f64_e32 v[84:85], v[176:177], v[68:69]
	v_fmac_f64_e32 v[54:55], -0.5, v[2:3]
	v_add_f64 v[2:3], v[64:65], -v[80:81]
	v_fma_f64 v[30:31], s[2:3], v[2:3], v[54:55]
	v_fmac_f64_e32 v[54:55], s[0:1], v[2:3]
	v_add_f64 v[2:3], v[56:57], v[84:85]
	v_add_f64 v[64:65], v[2:3], v[86:87]
	;; [unrolled: 1-line block ×3, first 2 shown]
	v_fmac_f64_e32 v[56:57], -0.5, v[2:3]
	v_add_f64 v[2:3], v[70:71], -v[88:89]
	v_fma_f64 v[68:69], s[0:1], v[2:3], v[56:57]
	v_fmac_f64_e32 v[56:57], s[2:3], v[2:3]
	v_add_f64 v[2:3], v[58:59], v[70:71]
	v_mul_f64 v[90:91], v[186:187], v[74:75]
	v_add_f64 v[66:67], v[2:3], v[88:89]
	v_add_f64 v[2:3], v[70:71], v[88:89]
	v_fmac_f64_e32 v[90:91], v[184:185], v[72:73]
	v_fmac_f64_e32 v[58:59], -0.5, v[2:3]
	v_add_f64 v[2:3], v[84:85], -v[86:87]
	v_fmac_f64_e32 v[94:95], v[188:189], v[76:77]
	v_fma_f64 v[70:71], s[2:3], v[2:3], v[58:59]
	v_fmac_f64_e32 v[58:59], s[0:1], v[2:3]
	v_add_f64 v[2:3], v[60:61], v[90:91]
	v_add_f64 v[72:73], v[2:3], v[94:95]
	;; [unrolled: 1-line block ×3, first 2 shown]
	v_fmac_f64_e32 v[60:61], -0.5, v[2:3]
	v_add_f64 v[2:3], v[92:93], -v[78:79]
	v_fma_f64 v[76:77], s[0:1], v[2:3], v[60:61]
	v_fmac_f64_e32 v[60:61], s[2:3], v[2:3]
	v_add_f64 v[2:3], v[62:63], v[92:93]
	v_add_f64 v[74:75], v[2:3], v[78:79]
	;; [unrolled: 1-line block ×5, first 2 shown]
	v_fmac_f64_e32 v[62:63], -0.5, v[2:3]
	v_add_f64 v[2:3], v[90:91], -v[94:95]
	v_fma_f64 v[78:79], s[2:3], v[2:3], v[62:63]
	v_fmac_f64_e32 v[62:63], s[0:1], v[2:3]
	ds_write_b128 v0, v[8:11]
	ds_write_b128 v0, v[12:15] offset:4400
	ds_write_b128 v0, v[44:47] offset:8800
	;; [unrolled: 1-line block ×14, first 2 shown]
	s_waitcnt lgkmcnt(0)
	; wave barrier
	s_waitcnt lgkmcnt(0)
	ds_read_b128 v[8:11], v0
	ds_read_b128 v[12:15], v0 offset:1200
	v_mov_b32_e32 v196, v195
	v_accvgpr_read_b32 v19, a7
	v_mad_u64_u32 v[2:3], s[0:1], s7, v6, v[196:197]
	v_accvgpr_read_b32 v18, a6
	v_mov_b32_e32 v195, v2
	v_accvgpr_read_b32 v17, a5
	v_accvgpr_read_b32 v16, a4
	s_waitcnt lgkmcnt(1)
	v_mul_f64 v[2:3], v[18:19], v[10:11]
	s_mov_b32 s0, 0x3dc013dc
	v_fmac_f64_e32 v[2:3], v[16:17], v[8:9]
	s_mov_b32 s1, 0x3f53dc01
	v_mul_f64 v[6:7], v[2:3], s[0:1]
	v_mul_f64 v[2:3], v[18:19], v[8:9]
	v_fma_f64 v[2:3], v[16:17], v[10:11], -v[2:3]
	v_accvgpr_read_b32 v10, a2
	v_mul_f64 v[8:9], v[2:3], s[0:1]
	v_mad_u64_u32 v[2:3], s[2:3], s4, v10, 0
	v_mov_b32_e32 v4, v3
	v_mad_u64_u32 v[4:5], s[2:3], s5, v10, v[4:5]
	v_mov_b32_e32 v3, v4
	v_lshl_add_u64 v[4:5], v[194:195], 4, v[192:193]
	v_lshl_add_u64 v[2:3], v[2:3], 4, v[4:5]
	global_store_dwordx4 v[2:3], v[6:9], off
	s_mul_i32 s2, s5, 0x4b
	s_mul_hi_u32 s3, s4, 0x4b
	v_accvgpr_read_b32 v8, a36
	v_accvgpr_read_b32 v10, a38
	;; [unrolled: 1-line block ×4, first 2 shown]
	s_waitcnt lgkmcnt(0)
	v_mul_f64 v[4:5], v[10:11], v[14:15]
	v_mul_f64 v[6:7], v[10:11], v[12:13]
	v_fmac_f64_e32 v[4:5], v[8:9], v[12:13]
	v_fma_f64 v[6:7], v[8:9], v[14:15], -v[6:7]
	ds_read_b128 v[8:11], v0 offset:2400
	s_add_i32 s3, s3, s2
	s_mul_i32 s2, s4, 0x4b
	s_lshl_b64 s[2:3], s[2:3], 4
	v_accvgpr_read_b32 v17, a11
	v_mul_f64 v[4:5], v[4:5], s[0:1]
	v_mul_f64 v[6:7], v[6:7], s[0:1]
	v_lshl_add_u64 v[2:3], v[2:3], 0, s[2:3]
	v_accvgpr_read_b32 v16, a10
	global_store_dwordx4 v[2:3], v[4:7], off
	ds_read_b128 v[4:7], v0 offset:3600
	v_accvgpr_read_b32 v15, a9
	v_accvgpr_read_b32 v14, a8
	s_waitcnt lgkmcnt(1)
	v_mul_f64 v[12:13], v[16:17], v[10:11]
	v_fmac_f64_e32 v[12:13], v[14:15], v[8:9]
	v_mul_f64 v[8:9], v[16:17], v[8:9]
	v_fma_f64 v[8:9], v[14:15], v[10:11], -v[8:9]
	v_mul_f64 v[12:13], v[12:13], s[0:1]
	v_mul_f64 v[14:15], v[8:9], s[0:1]
	v_lshl_add_u64 v[2:3], v[2:3], 0, s[2:3]
	global_store_dwordx4 v[2:3], v[12:15], off
	v_accvgpr_read_b32 v10, a28
	v_accvgpr_read_b32 v11, a29
	;; [unrolled: 1-line block ×4, first 2 shown]
	s_waitcnt lgkmcnt(0)
	v_mul_f64 v[8:9], v[12:13], v[6:7]
	v_fmac_f64_e32 v[8:9], v[10:11], v[4:5]
	v_mul_f64 v[4:5], v[12:13], v[4:5]
	v_fma_f64 v[10:11], v[10:11], v[6:7], -v[4:5]
	ds_read_b128 v[4:7], v0 offset:4800
	v_accvgpr_read_b32 v14, a16
	v_mul_f64 v[8:9], v[8:9], s[0:1]
	v_mul_f64 v[10:11], v[10:11], s[0:1]
	v_lshl_add_u64 v[2:3], v[2:3], 0, s[2:3]
	v_accvgpr_read_b32 v16, a18
	v_accvgpr_read_b32 v17, a19
	global_store_dwordx4 v[2:3], v[8:11], off
	ds_read_b128 v[8:11], v0 offset:6000
	v_accvgpr_read_b32 v15, a17
	s_waitcnt lgkmcnt(1)
	v_mul_f64 v[12:13], v[16:17], v[6:7]
	v_fmac_f64_e32 v[12:13], v[14:15], v[4:5]
	v_mul_f64 v[4:5], v[16:17], v[4:5]
	v_fma_f64 v[4:5], v[14:15], v[6:7], -v[4:5]
	v_mul_f64 v[12:13], v[12:13], s[0:1]
	v_mul_f64 v[14:15], v[4:5], s[0:1]
	v_lshl_add_u64 v[2:3], v[2:3], 0, s[2:3]
	global_store_dwordx4 v[2:3], v[12:15], off
	v_lshl_add_u64 v[2:3], v[2:3], 0, s[2:3]
	s_nop 0
	v_accvgpr_read_b32 v12, a32
	v_accvgpr_read_b32 v14, a34
	;; [unrolled: 1-line block ×4, first 2 shown]
	s_waitcnt lgkmcnt(0)
	v_mul_f64 v[4:5], v[14:15], v[10:11]
	v_mul_f64 v[6:7], v[14:15], v[8:9]
	v_fmac_f64_e32 v[4:5], v[12:13], v[8:9]
	v_fma_f64 v[6:7], v[12:13], v[10:11], -v[6:7]
	ds_read_b128 v[8:11], v0 offset:7200
	v_accvgpr_read_b32 v17, a15
	v_mul_f64 v[4:5], v[4:5], s[0:1]
	v_mul_f64 v[6:7], v[6:7], s[0:1]
	v_accvgpr_read_b32 v16, a14
	global_store_dwordx4 v[2:3], v[4:7], off
	ds_read_b128 v[4:7], v0 offset:8400
	v_accvgpr_read_b32 v15, a13
	v_accvgpr_read_b32 v14, a12
	s_waitcnt lgkmcnt(1)
	v_mul_f64 v[12:13], v[16:17], v[10:11]
	v_fmac_f64_e32 v[12:13], v[14:15], v[8:9]
	v_mul_f64 v[8:9], v[16:17], v[8:9]
	v_fma_f64 v[8:9], v[14:15], v[10:11], -v[8:9]
	v_mul_f64 v[12:13], v[12:13], s[0:1]
	v_mul_f64 v[14:15], v[8:9], s[0:1]
	v_lshl_add_u64 v[2:3], v[2:3], 0, s[2:3]
	global_store_dwordx4 v[2:3], v[12:15], off
	v_accvgpr_read_b32 v10, a40
	v_accvgpr_read_b32 v11, a41
	;; [unrolled: 1-line block ×4, first 2 shown]
	s_waitcnt lgkmcnt(0)
	v_mul_f64 v[8:9], v[12:13], v[6:7]
	v_fmac_f64_e32 v[8:9], v[10:11], v[4:5]
	v_mul_f64 v[4:5], v[12:13], v[4:5]
	v_fma_f64 v[10:11], v[10:11], v[6:7], -v[4:5]
	ds_read_b128 v[4:7], v0 offset:9600
	v_accvgpr_read_b32 v14, a20
	v_mul_f64 v[8:9], v[8:9], s[0:1]
	v_mul_f64 v[10:11], v[10:11], s[0:1]
	v_lshl_add_u64 v[2:3], v[2:3], 0, s[2:3]
	v_accvgpr_read_b32 v16, a22
	v_accvgpr_read_b32 v17, a23
	global_store_dwordx4 v[2:3], v[8:11], off
	ds_read_b128 v[8:11], v0 offset:10800
	v_accvgpr_read_b32 v15, a21
	s_waitcnt lgkmcnt(1)
	v_mul_f64 v[12:13], v[16:17], v[6:7]
	v_fmac_f64_e32 v[12:13], v[14:15], v[4:5]
	v_mul_f64 v[4:5], v[16:17], v[4:5]
	v_fma_f64 v[4:5], v[14:15], v[6:7], -v[4:5]
	v_mul_f64 v[12:13], v[12:13], s[0:1]
	v_mul_f64 v[14:15], v[4:5], s[0:1]
	v_lshl_add_u64 v[2:3], v[2:3], 0, s[2:3]
	global_store_dwordx4 v[2:3], v[12:15], off
	v_accvgpr_read_b32 v16, a24
	ds_read_b128 v[12:15], v0 offset:12000
	v_accvgpr_read_b32 v18, a26
	v_accvgpr_read_b32 v19, a27
	;; [unrolled: 1-line block ×3, first 2 shown]
	s_waitcnt lgkmcnt(1)
	v_mul_f64 v[4:5], v[18:19], v[10:11]
	v_mul_f64 v[6:7], v[18:19], v[8:9]
	v_fmac_f64_e32 v[4:5], v[16:17], v[8:9]
	v_fma_f64 v[6:7], v[16:17], v[10:11], -v[6:7]
	v_accvgpr_read_b32 v8, a44
	v_mul_f64 v[4:5], v[4:5], s[0:1]
	v_mul_f64 v[6:7], v[6:7], s[0:1]
	v_lshl_add_u64 v[2:3], v[2:3], 0, s[2:3]
	v_accvgpr_read_b32 v10, a46
	v_accvgpr_read_b32 v11, a47
	global_store_dwordx4 v[2:3], v[4:7], off
	v_accvgpr_read_b32 v9, a45
	s_waitcnt lgkmcnt(0)
	v_mul_f64 v[4:5], v[10:11], v[14:15]
	v_fmac_f64_e32 v[4:5], v[8:9], v[12:13]
	v_mul_f64 v[6:7], v[4:5], s[0:1]
	v_mul_f64 v[4:5], v[10:11], v[12:13]
	v_fma_f64 v[4:5], v[8:9], v[14:15], -v[4:5]
	v_mul_f64 v[8:9], v[4:5], s[0:1]
	v_lshl_add_u64 v[4:5], v[2:3], 0, s[2:3]
	global_store_dwordx4 v[4:5], v[6:9], off
	s_and_b64 exec, exec, vcc
	s_cbranch_execz .LBB0_15
; %bb.14:
	v_accvgpr_read_b32 v21, a1
	v_accvgpr_read_b32 v20, a0
	global_load_dwordx4 v[6:9], v[20:21], off offset:880
	ds_read_b128 v[10:13], v0 offset:880
	ds_read_b128 v[14:17], v0 offset:2080
	v_mov_b32_e32 v1, 0xffffd490
	s_mulk_i32 s5, 0xd490
	v_mad_u64_u32 v[2:3], s[6:7], s4, v1, v[4:5]
	s_sub_i32 s4, s5, s4
	v_add_u32_e32 v3, s4, v3
	s_movk_i32 s4, 0x1000
	s_waitcnt vmcnt(0) lgkmcnt(1)
	v_mul_f64 v[4:5], v[12:13], v[8:9]
	v_mul_f64 v[8:9], v[10:11], v[8:9]
	v_fmac_f64_e32 v[4:5], v[10:11], v[6:7]
	v_fma_f64 v[6:7], v[6:7], v[12:13], -v[8:9]
	v_mul_f64 v[4:5], v[4:5], s[0:1]
	v_mul_f64 v[6:7], v[6:7], s[0:1]
	global_store_dwordx4 v[2:3], v[4:7], off
	global_load_dwordx4 v[4:7], v[20:21], off offset:2080
	v_lshl_add_u64 v[2:3], v[2:3], 0, s[2:3]
	s_waitcnt vmcnt(0) lgkmcnt(0)
	v_mul_f64 v[8:9], v[16:17], v[6:7]
	v_mul_f64 v[6:7], v[14:15], v[6:7]
	v_fmac_f64_e32 v[8:9], v[14:15], v[4:5]
	v_fma_f64 v[6:7], v[4:5], v[16:17], -v[6:7]
	v_mul_f64 v[4:5], v[8:9], s[0:1]
	v_mul_f64 v[6:7], v[6:7], s[0:1]
	global_store_dwordx4 v[2:3], v[4:7], off
	global_load_dwordx4 v[4:7], v[20:21], off offset:3280
	ds_read_b128 v[8:11], v0 offset:3280
	ds_read_b128 v[12:15], v0 offset:4480
	v_add_co_u32_e32 v16, vcc, s4, v20
	v_lshl_add_u64 v[2:3], v[2:3], 0, s[2:3]
	s_nop 0
	v_addc_co_u32_e32 v17, vcc, 0, v21, vcc
	s_movk_i32 s4, 0x2000
	s_waitcnt vmcnt(0) lgkmcnt(1)
	v_mul_f64 v[18:19], v[10:11], v[6:7]
	v_mul_f64 v[6:7], v[8:9], v[6:7]
	v_fmac_f64_e32 v[18:19], v[8:9], v[4:5]
	v_fma_f64 v[6:7], v[4:5], v[10:11], -v[6:7]
	v_mul_f64 v[4:5], v[18:19], s[0:1]
	v_mul_f64 v[6:7], v[6:7], s[0:1]
	global_store_dwordx4 v[2:3], v[4:7], off
	global_load_dwordx4 v[4:7], v[16:17], off offset:384
	v_lshl_add_u64 v[2:3], v[2:3], 0, s[2:3]
	s_waitcnt vmcnt(0) lgkmcnt(0)
	v_mul_f64 v[8:9], v[14:15], v[6:7]
	v_mul_f64 v[6:7], v[12:13], v[6:7]
	v_fmac_f64_e32 v[8:9], v[12:13], v[4:5]
	v_fma_f64 v[6:7], v[4:5], v[14:15], -v[6:7]
	v_mul_f64 v[4:5], v[8:9], s[0:1]
	v_mul_f64 v[6:7], v[6:7], s[0:1]
	global_store_dwordx4 v[2:3], v[4:7], off
	global_load_dwordx4 v[4:7], v[16:17], off offset:1584
	ds_read_b128 v[8:11], v0 offset:5680
	ds_read_b128 v[12:15], v0 offset:6880
	v_lshl_add_u64 v[2:3], v[2:3], 0, s[2:3]
	s_waitcnt vmcnt(0) lgkmcnt(1)
	v_mul_f64 v[18:19], v[10:11], v[6:7]
	v_mul_f64 v[6:7], v[8:9], v[6:7]
	v_fmac_f64_e32 v[18:19], v[8:9], v[4:5]
	v_fma_f64 v[6:7], v[4:5], v[10:11], -v[6:7]
	v_mul_f64 v[4:5], v[18:19], s[0:1]
	v_mul_f64 v[6:7], v[6:7], s[0:1]
	global_store_dwordx4 v[2:3], v[4:7], off
	global_load_dwordx4 v[4:7], v[16:17], off offset:2784
	v_lshl_add_u64 v[2:3], v[2:3], 0, s[2:3]
	s_waitcnt vmcnt(0) lgkmcnt(0)
	v_mul_f64 v[8:9], v[14:15], v[6:7]
	v_mul_f64 v[6:7], v[12:13], v[6:7]
	v_fmac_f64_e32 v[8:9], v[12:13], v[4:5]
	v_fma_f64 v[6:7], v[4:5], v[14:15], -v[6:7]
	v_mul_f64 v[4:5], v[8:9], s[0:1]
	v_mul_f64 v[6:7], v[6:7], s[0:1]
	global_store_dwordx4 v[2:3], v[4:7], off
	global_load_dwordx4 v[4:7], v[16:17], off offset:3984
	ds_read_b128 v[8:11], v0 offset:8080
	ds_read_b128 v[12:15], v0 offset:9280
	v_add_co_u32_e32 v16, vcc, s4, v20
	v_lshl_add_u64 v[2:3], v[2:3], 0, s[2:3]
	s_nop 0
	v_addc_co_u32_e32 v17, vcc, 0, v21, vcc
	s_movk_i32 s4, 0x3000
	s_waitcnt vmcnt(0) lgkmcnt(1)
	v_mul_f64 v[18:19], v[10:11], v[6:7]
	v_mul_f64 v[6:7], v[8:9], v[6:7]
	v_fmac_f64_e32 v[18:19], v[8:9], v[4:5]
	v_fma_f64 v[6:7], v[4:5], v[10:11], -v[6:7]
	v_mul_f64 v[4:5], v[18:19], s[0:1]
	v_mul_f64 v[6:7], v[6:7], s[0:1]
	global_store_dwordx4 v[2:3], v[4:7], off
	global_load_dwordx4 v[4:7], v[16:17], off offset:1088
	v_lshl_add_u64 v[2:3], v[2:3], 0, s[2:3]
	s_waitcnt vmcnt(0) lgkmcnt(0)
	v_mul_f64 v[8:9], v[14:15], v[6:7]
	v_mul_f64 v[6:7], v[12:13], v[6:7]
	v_fmac_f64_e32 v[8:9], v[12:13], v[4:5]
	v_fma_f64 v[6:7], v[4:5], v[14:15], -v[6:7]
	v_mul_f64 v[4:5], v[8:9], s[0:1]
	v_mul_f64 v[6:7], v[6:7], s[0:1]
	global_store_dwordx4 v[2:3], v[4:7], off
	global_load_dwordx4 v[4:7], v[16:17], off offset:2288
	ds_read_b128 v[8:11], v0 offset:10480
	ds_read_b128 v[12:15], v0 offset:11680
	v_lshl_add_u64 v[2:3], v[2:3], 0, s[2:3]
	s_waitcnt vmcnt(0) lgkmcnt(1)
	v_mul_f64 v[18:19], v[10:11], v[6:7]
	v_mul_f64 v[6:7], v[8:9], v[6:7]
	v_fmac_f64_e32 v[18:19], v[8:9], v[4:5]
	v_fma_f64 v[6:7], v[4:5], v[10:11], -v[6:7]
	v_mul_f64 v[4:5], v[18:19], s[0:1]
	v_mul_f64 v[6:7], v[6:7], s[0:1]
	global_store_dwordx4 v[2:3], v[4:7], off
	global_load_dwordx4 v[4:7], v[16:17], off offset:3488
	v_lshl_add_u64 v[10:11], v[2:3], 0, s[2:3]
	v_add_co_u32_e32 v8, vcc, s4, v20
	s_waitcnt vmcnt(0) lgkmcnt(0)
	v_mul_f64 v[2:3], v[14:15], v[6:7]
	v_mul_f64 v[6:7], v[12:13], v[6:7]
	v_fmac_f64_e32 v[2:3], v[12:13], v[4:5]
	v_fma_f64 v[4:5], v[4:5], v[14:15], -v[6:7]
	v_mul_f64 v[2:3], v[2:3], s[0:1]
	v_mul_f64 v[4:5], v[4:5], s[0:1]
	v_addc_co_u32_e32 v9, vcc, 0, v21, vcc
	global_store_dwordx4 v[10:11], v[2:5], off
	global_load_dwordx4 v[2:5], v[8:9], off offset:592
	ds_read_b128 v[6:9], v0 offset:12880
	s_waitcnt vmcnt(0) lgkmcnt(0)
	v_mul_f64 v[0:1], v[8:9], v[4:5]
	v_mul_f64 v[4:5], v[6:7], v[4:5]
	v_fmac_f64_e32 v[0:1], v[6:7], v[2:3]
	v_fma_f64 v[2:3], v[2:3], v[8:9], -v[4:5]
	v_mul_f64 v[0:1], v[0:1], s[0:1]
	v_mul_f64 v[2:3], v[2:3], s[0:1]
	v_lshl_add_u64 v[4:5], v[10:11], 0, s[2:3]
	global_store_dwordx4 v[4:5], v[0:3], off
.LBB0_15:
	s_endpgm
	.section	.rodata,"a",@progbits
	.p2align	6, 0x0
	.amdhsa_kernel bluestein_single_fwd_len825_dim1_dp_op_CI_CI
		.amdhsa_group_segment_fixed_size 13200
		.amdhsa_private_segment_fixed_size 0
		.amdhsa_kernarg_size 104
		.amdhsa_user_sgpr_count 2
		.amdhsa_user_sgpr_dispatch_ptr 0
		.amdhsa_user_sgpr_queue_ptr 0
		.amdhsa_user_sgpr_kernarg_segment_ptr 1
		.amdhsa_user_sgpr_dispatch_id 0
		.amdhsa_user_sgpr_kernarg_preload_length 0
		.amdhsa_user_sgpr_kernarg_preload_offset 0
		.amdhsa_user_sgpr_private_segment_size 0
		.amdhsa_uses_dynamic_stack 0
		.amdhsa_enable_private_segment 0
		.amdhsa_system_sgpr_workgroup_id_x 1
		.amdhsa_system_sgpr_workgroup_id_y 0
		.amdhsa_system_sgpr_workgroup_id_z 0
		.amdhsa_system_sgpr_workgroup_info 0
		.amdhsa_system_vgpr_workitem_id 0
		.amdhsa_next_free_vgpr 314
		.amdhsa_next_free_sgpr 40
		.amdhsa_accum_offset 256
		.amdhsa_reserve_vcc 1
		.amdhsa_float_round_mode_32 0
		.amdhsa_float_round_mode_16_64 0
		.amdhsa_float_denorm_mode_32 3
		.amdhsa_float_denorm_mode_16_64 3
		.amdhsa_dx10_clamp 1
		.amdhsa_ieee_mode 1
		.amdhsa_fp16_overflow 0
		.amdhsa_tg_split 0
		.amdhsa_exception_fp_ieee_invalid_op 0
		.amdhsa_exception_fp_denorm_src 0
		.amdhsa_exception_fp_ieee_div_zero 0
		.amdhsa_exception_fp_ieee_overflow 0
		.amdhsa_exception_fp_ieee_underflow 0
		.amdhsa_exception_fp_ieee_inexact 0
		.amdhsa_exception_int_div_zero 0
	.end_amdhsa_kernel
	.text
.Lfunc_end0:
	.size	bluestein_single_fwd_len825_dim1_dp_op_CI_CI, .Lfunc_end0-bluestein_single_fwd_len825_dim1_dp_op_CI_CI
                                        ; -- End function
	.section	.AMDGPU.csdata,"",@progbits
; Kernel info:
; codeLenInByte = 26376
; NumSgprs: 46
; NumVgprs: 256
; NumAgprs: 58
; TotalNumVgprs: 314
; ScratchSize: 0
; MemoryBound: 0
; FloatMode: 240
; IeeeMode: 1
; LDSByteSize: 13200 bytes/workgroup (compile time only)
; SGPRBlocks: 5
; VGPRBlocks: 39
; NumSGPRsForWavesPerEU: 46
; NumVGPRsForWavesPerEU: 314
; AccumOffset: 256
; Occupancy: 1
; WaveLimiterHint : 1
; COMPUTE_PGM_RSRC2:SCRATCH_EN: 0
; COMPUTE_PGM_RSRC2:USER_SGPR: 2
; COMPUTE_PGM_RSRC2:TRAP_HANDLER: 0
; COMPUTE_PGM_RSRC2:TGID_X_EN: 1
; COMPUTE_PGM_RSRC2:TGID_Y_EN: 0
; COMPUTE_PGM_RSRC2:TGID_Z_EN: 0
; COMPUTE_PGM_RSRC2:TIDIG_COMP_CNT: 0
; COMPUTE_PGM_RSRC3_GFX90A:ACCUM_OFFSET: 63
; COMPUTE_PGM_RSRC3_GFX90A:TG_SPLIT: 0
	.text
	.p2alignl 6, 3212836864
	.fill 256, 4, 3212836864
	.type	__hip_cuid_d076d2cbf65b0e96,@object ; @__hip_cuid_d076d2cbf65b0e96
	.section	.bss,"aw",@nobits
	.globl	__hip_cuid_d076d2cbf65b0e96
__hip_cuid_d076d2cbf65b0e96:
	.byte	0                               ; 0x0
	.size	__hip_cuid_d076d2cbf65b0e96, 1

	.ident	"AMD clang version 19.0.0git (https://github.com/RadeonOpenCompute/llvm-project roc-6.4.0 25133 c7fe45cf4b819c5991fe208aaa96edf142730f1d)"
	.section	".note.GNU-stack","",@progbits
	.addrsig
	.addrsig_sym __hip_cuid_d076d2cbf65b0e96
	.amdgpu_metadata
---
amdhsa.kernels:
  - .agpr_count:     58
    .args:
      - .actual_access:  read_only
        .address_space:  global
        .offset:         0
        .size:           8
        .value_kind:     global_buffer
      - .actual_access:  read_only
        .address_space:  global
        .offset:         8
        .size:           8
        .value_kind:     global_buffer
      - .actual_access:  read_only
        .address_space:  global
        .offset:         16
        .size:           8
        .value_kind:     global_buffer
      - .actual_access:  read_only
        .address_space:  global
        .offset:         24
        .size:           8
        .value_kind:     global_buffer
      - .actual_access:  read_only
        .address_space:  global
        .offset:         32
        .size:           8
        .value_kind:     global_buffer
      - .offset:         40
        .size:           8
        .value_kind:     by_value
      - .address_space:  global
        .offset:         48
        .size:           8
        .value_kind:     global_buffer
      - .address_space:  global
        .offset:         56
        .size:           8
        .value_kind:     global_buffer
      - .address_space:  global
        .offset:         64
        .size:           8
        .value_kind:     global_buffer
      - .address_space:  global
        .offset:         72
        .size:           8
        .value_kind:     global_buffer
      - .offset:         80
        .size:           4
        .value_kind:     by_value
      - .address_space:  global
        .offset:         88
        .size:           8
        .value_kind:     global_buffer
      - .address_space:  global
        .offset:         96
        .size:           8
        .value_kind:     global_buffer
    .group_segment_fixed_size: 13200
    .kernarg_segment_align: 8
    .kernarg_segment_size: 104
    .language:       OpenCL C
    .language_version:
      - 2
      - 0
    .max_flat_workgroup_size: 55
    .name:           bluestein_single_fwd_len825_dim1_dp_op_CI_CI
    .private_segment_fixed_size: 0
    .sgpr_count:     46
    .sgpr_spill_count: 0
    .symbol:         bluestein_single_fwd_len825_dim1_dp_op_CI_CI.kd
    .uniform_work_group_size: 1
    .uses_dynamic_stack: false
    .vgpr_count:     314
    .vgpr_spill_count: 0
    .wavefront_size: 64
amdhsa.target:   amdgcn-amd-amdhsa--gfx950
amdhsa.version:
  - 1
  - 2
...

	.end_amdgpu_metadata
